;; amdgpu-corpus repo=ROCm/rocFFT kind=compiled arch=gfx1100 opt=O3
	.text
	.amdgcn_target "amdgcn-amd-amdhsa--gfx1100"
	.amdhsa_code_object_version 6
	.protected	fft_rtc_back_len320_factors_10_4_4_2_wgs_64_tpt_16_halfLds_sp_op_CI_CI_unitstride_sbrr_R2C_dirReg ; -- Begin function fft_rtc_back_len320_factors_10_4_4_2_wgs_64_tpt_16_halfLds_sp_op_CI_CI_unitstride_sbrr_R2C_dirReg
	.globl	fft_rtc_back_len320_factors_10_4_4_2_wgs_64_tpt_16_halfLds_sp_op_CI_CI_unitstride_sbrr_R2C_dirReg
	.p2align	8
	.type	fft_rtc_back_len320_factors_10_4_4_2_wgs_64_tpt_16_halfLds_sp_op_CI_CI_unitstride_sbrr_R2C_dirReg,@function
fft_rtc_back_len320_factors_10_4_4_2_wgs_64_tpt_16_halfLds_sp_op_CI_CI_unitstride_sbrr_R2C_dirReg: ; @fft_rtc_back_len320_factors_10_4_4_2_wgs_64_tpt_16_halfLds_sp_op_CI_CI_unitstride_sbrr_R2C_dirReg
; %bb.0:
	s_clause 0x2
	s_load_b128 s[8:11], s[0:1], 0x0
	s_load_b128 s[4:7], s[0:1], 0x58
	;; [unrolled: 1-line block ×3, first 2 shown]
	v_lshrrev_b32_e32 v7, 4, v0
	v_mov_b32_e32 v3, 0
	v_mov_b32_e32 v1, 0
	;; [unrolled: 1-line block ×3, first 2 shown]
	s_delay_alu instid0(VALU_DEP_4) | instskip(NEXT) | instid1(VALU_DEP_4)
	v_lshl_or_b32 v5, s15, 2, v7
	v_mov_b32_e32 v6, v3
	s_waitcnt lgkmcnt(0)
	v_cmp_lt_u64_e64 s2, s[10:11], 2
	s_delay_alu instid0(VALU_DEP_1)
	s_and_b32 vcc_lo, exec_lo, s2
	s_cbranch_vccnz .LBB0_8
; %bb.1:
	s_load_b64 s[2:3], s[0:1], 0x10
	v_mov_b32_e32 v1, 0
	v_mov_b32_e32 v2, 0
	s_add_u32 s12, s18, 8
	s_addc_u32 s13, s19, 0
	s_add_u32 s14, s16, 8
	s_addc_u32 s15, s17, 0
	v_dual_mov_b32 v17, v2 :: v_dual_mov_b32 v16, v1
	s_mov_b64 s[22:23], 1
	s_waitcnt lgkmcnt(0)
	s_add_u32 s20, s2, 8
	s_addc_u32 s21, s3, 0
.LBB0_2:                                ; =>This Inner Loop Header: Depth=1
	s_load_b64 s[24:25], s[20:21], 0x0
                                        ; implicit-def: $vgpr20_vgpr21
	s_mov_b32 s2, exec_lo
	s_waitcnt lgkmcnt(0)
	v_or_b32_e32 v4, s25, v6
	s_delay_alu instid0(VALU_DEP_1)
	v_cmpx_ne_u64_e32 0, v[3:4]
	s_xor_b32 s3, exec_lo, s2
	s_cbranch_execz .LBB0_4
; %bb.3:                                ;   in Loop: Header=BB0_2 Depth=1
	v_cvt_f32_u32_e32 v4, s24
	v_cvt_f32_u32_e32 v8, s25
	s_sub_u32 s2, 0, s24
	s_subb_u32 s26, 0, s25
	s_delay_alu instid0(VALU_DEP_1) | instskip(NEXT) | instid1(VALU_DEP_1)
	v_fmac_f32_e32 v4, 0x4f800000, v8
	v_rcp_f32_e32 v4, v4
	s_waitcnt_depctr 0xfff
	v_mul_f32_e32 v4, 0x5f7ffffc, v4
	s_delay_alu instid0(VALU_DEP_1) | instskip(NEXT) | instid1(VALU_DEP_1)
	v_mul_f32_e32 v8, 0x2f800000, v4
	v_trunc_f32_e32 v8, v8
	s_delay_alu instid0(VALU_DEP_1) | instskip(SKIP_1) | instid1(VALU_DEP_2)
	v_fmac_f32_e32 v4, 0xcf800000, v8
	v_cvt_u32_f32_e32 v8, v8
	v_cvt_u32_f32_e32 v4, v4
	s_delay_alu instid0(VALU_DEP_2) | instskip(NEXT) | instid1(VALU_DEP_2)
	v_mul_lo_u32 v9, s2, v8
	v_mul_hi_u32 v10, s2, v4
	v_mul_lo_u32 v11, s26, v4
	s_delay_alu instid0(VALU_DEP_2) | instskip(SKIP_1) | instid1(VALU_DEP_2)
	v_add_nc_u32_e32 v9, v10, v9
	v_mul_lo_u32 v10, s2, v4
	v_add_nc_u32_e32 v9, v9, v11
	s_delay_alu instid0(VALU_DEP_2) | instskip(NEXT) | instid1(VALU_DEP_2)
	v_mul_hi_u32 v11, v4, v10
	v_mul_lo_u32 v12, v4, v9
	v_mul_hi_u32 v13, v4, v9
	v_mul_hi_u32 v14, v8, v10
	v_mul_lo_u32 v10, v8, v10
	v_mul_hi_u32 v15, v8, v9
	v_mul_lo_u32 v9, v8, v9
	v_add_co_u32 v11, vcc_lo, v11, v12
	v_add_co_ci_u32_e32 v12, vcc_lo, 0, v13, vcc_lo
	s_delay_alu instid0(VALU_DEP_2) | instskip(NEXT) | instid1(VALU_DEP_2)
	v_add_co_u32 v10, vcc_lo, v11, v10
	v_add_co_ci_u32_e32 v10, vcc_lo, v12, v14, vcc_lo
	v_add_co_ci_u32_e32 v11, vcc_lo, 0, v15, vcc_lo
	s_delay_alu instid0(VALU_DEP_2) | instskip(NEXT) | instid1(VALU_DEP_2)
	v_add_co_u32 v9, vcc_lo, v10, v9
	v_add_co_ci_u32_e32 v10, vcc_lo, 0, v11, vcc_lo
	s_delay_alu instid0(VALU_DEP_2) | instskip(NEXT) | instid1(VALU_DEP_2)
	v_add_co_u32 v4, vcc_lo, v4, v9
	v_add_co_ci_u32_e32 v8, vcc_lo, v8, v10, vcc_lo
	s_delay_alu instid0(VALU_DEP_2) | instskip(SKIP_1) | instid1(VALU_DEP_3)
	v_mul_hi_u32 v9, s2, v4
	v_mul_lo_u32 v11, s26, v4
	v_mul_lo_u32 v10, s2, v8
	s_delay_alu instid0(VALU_DEP_1) | instskip(SKIP_1) | instid1(VALU_DEP_2)
	v_add_nc_u32_e32 v9, v9, v10
	v_mul_lo_u32 v10, s2, v4
	v_add_nc_u32_e32 v9, v9, v11
	s_delay_alu instid0(VALU_DEP_2) | instskip(NEXT) | instid1(VALU_DEP_2)
	v_mul_hi_u32 v11, v4, v10
	v_mul_lo_u32 v12, v4, v9
	v_mul_hi_u32 v13, v4, v9
	v_mul_hi_u32 v14, v8, v10
	v_mul_lo_u32 v10, v8, v10
	v_mul_hi_u32 v15, v8, v9
	v_mul_lo_u32 v9, v8, v9
	v_add_co_u32 v11, vcc_lo, v11, v12
	v_add_co_ci_u32_e32 v12, vcc_lo, 0, v13, vcc_lo
	s_delay_alu instid0(VALU_DEP_2) | instskip(NEXT) | instid1(VALU_DEP_2)
	v_add_co_u32 v10, vcc_lo, v11, v10
	v_add_co_ci_u32_e32 v10, vcc_lo, v12, v14, vcc_lo
	v_add_co_ci_u32_e32 v11, vcc_lo, 0, v15, vcc_lo
	s_delay_alu instid0(VALU_DEP_2) | instskip(NEXT) | instid1(VALU_DEP_2)
	v_add_co_u32 v9, vcc_lo, v10, v9
	v_add_co_ci_u32_e32 v10, vcc_lo, 0, v11, vcc_lo
	s_delay_alu instid0(VALU_DEP_2) | instskip(NEXT) | instid1(VALU_DEP_2)
	v_add_co_u32 v4, vcc_lo, v4, v9
	v_add_co_ci_u32_e32 v14, vcc_lo, v8, v10, vcc_lo
	s_delay_alu instid0(VALU_DEP_2) | instskip(SKIP_1) | instid1(VALU_DEP_3)
	v_mul_hi_u32 v15, v5, v4
	v_mad_u64_u32 v[10:11], null, v6, v4, 0
	v_mad_u64_u32 v[8:9], null, v5, v14, 0
	;; [unrolled: 1-line block ×3, first 2 shown]
	s_delay_alu instid0(VALU_DEP_2) | instskip(NEXT) | instid1(VALU_DEP_3)
	v_add_co_u32 v4, vcc_lo, v15, v8
	v_add_co_ci_u32_e32 v8, vcc_lo, 0, v9, vcc_lo
	s_delay_alu instid0(VALU_DEP_2) | instskip(NEXT) | instid1(VALU_DEP_2)
	v_add_co_u32 v4, vcc_lo, v4, v10
	v_add_co_ci_u32_e32 v4, vcc_lo, v8, v11, vcc_lo
	v_add_co_ci_u32_e32 v8, vcc_lo, 0, v13, vcc_lo
	s_delay_alu instid0(VALU_DEP_2) | instskip(NEXT) | instid1(VALU_DEP_2)
	v_add_co_u32 v4, vcc_lo, v4, v12
	v_add_co_ci_u32_e32 v10, vcc_lo, 0, v8, vcc_lo
	s_delay_alu instid0(VALU_DEP_2) | instskip(SKIP_1) | instid1(VALU_DEP_3)
	v_mul_lo_u32 v11, s25, v4
	v_mad_u64_u32 v[8:9], null, s24, v4, 0
	v_mul_lo_u32 v12, s24, v10
	s_delay_alu instid0(VALU_DEP_2) | instskip(NEXT) | instid1(VALU_DEP_2)
	v_sub_co_u32 v8, vcc_lo, v5, v8
	v_add3_u32 v9, v9, v12, v11
	s_delay_alu instid0(VALU_DEP_1) | instskip(NEXT) | instid1(VALU_DEP_1)
	v_sub_nc_u32_e32 v11, v6, v9
	v_subrev_co_ci_u32_e64 v11, s2, s25, v11, vcc_lo
	v_add_co_u32 v12, s2, v4, 2
	s_delay_alu instid0(VALU_DEP_1) | instskip(SKIP_3) | instid1(VALU_DEP_3)
	v_add_co_ci_u32_e64 v13, s2, 0, v10, s2
	v_sub_co_u32 v14, s2, v8, s24
	v_sub_co_ci_u32_e32 v9, vcc_lo, v6, v9, vcc_lo
	v_subrev_co_ci_u32_e64 v11, s2, 0, v11, s2
	v_cmp_le_u32_e32 vcc_lo, s24, v14
	s_delay_alu instid0(VALU_DEP_3) | instskip(SKIP_1) | instid1(VALU_DEP_4)
	v_cmp_eq_u32_e64 s2, s25, v9
	v_cndmask_b32_e64 v14, 0, -1, vcc_lo
	v_cmp_le_u32_e32 vcc_lo, s25, v11
	v_cndmask_b32_e64 v15, 0, -1, vcc_lo
	v_cmp_le_u32_e32 vcc_lo, s24, v8
	;; [unrolled: 2-line block ×3, first 2 shown]
	v_cndmask_b32_e64 v18, 0, -1, vcc_lo
	v_cmp_eq_u32_e32 vcc_lo, s25, v11
	s_delay_alu instid0(VALU_DEP_2) | instskip(SKIP_3) | instid1(VALU_DEP_3)
	v_cndmask_b32_e64 v8, v18, v8, s2
	v_cndmask_b32_e32 v11, v15, v14, vcc_lo
	v_add_co_u32 v14, vcc_lo, v4, 1
	v_add_co_ci_u32_e32 v15, vcc_lo, 0, v10, vcc_lo
	v_cmp_ne_u32_e32 vcc_lo, 0, v11
	s_delay_alu instid0(VALU_DEP_3) | instskip(NEXT) | instid1(VALU_DEP_3)
	v_cndmask_b32_e32 v11, v14, v12, vcc_lo
	v_cndmask_b32_e32 v9, v15, v13, vcc_lo
	v_cmp_ne_u32_e32 vcc_lo, 0, v8
	s_delay_alu instid0(VALU_DEP_2)
	v_dual_cndmask_b32 v20, v4, v11 :: v_dual_cndmask_b32 v21, v10, v9
.LBB0_4:                                ;   in Loop: Header=BB0_2 Depth=1
	s_and_not1_saveexec_b32 s2, s3
	s_cbranch_execz .LBB0_6
; %bb.5:                                ;   in Loop: Header=BB0_2 Depth=1
	v_cvt_f32_u32_e32 v4, s24
	s_sub_i32 s3, 0, s24
	v_mov_b32_e32 v21, v3
	s_delay_alu instid0(VALU_DEP_2) | instskip(SKIP_2) | instid1(VALU_DEP_1)
	v_rcp_iflag_f32_e32 v4, v4
	s_waitcnt_depctr 0xfff
	v_mul_f32_e32 v4, 0x4f7ffffe, v4
	v_cvt_u32_f32_e32 v4, v4
	s_delay_alu instid0(VALU_DEP_1) | instskip(NEXT) | instid1(VALU_DEP_1)
	v_mul_lo_u32 v8, s3, v4
	v_mul_hi_u32 v8, v4, v8
	s_delay_alu instid0(VALU_DEP_1) | instskip(NEXT) | instid1(VALU_DEP_1)
	v_add_nc_u32_e32 v4, v4, v8
	v_mul_hi_u32 v4, v5, v4
	s_delay_alu instid0(VALU_DEP_1) | instskip(NEXT) | instid1(VALU_DEP_1)
	v_mul_lo_u32 v8, v4, s24
	v_sub_nc_u32_e32 v8, v5, v8
	s_delay_alu instid0(VALU_DEP_1) | instskip(SKIP_1) | instid1(VALU_DEP_2)
	v_subrev_nc_u32_e32 v10, s24, v8
	v_cmp_le_u32_e32 vcc_lo, s24, v8
	v_dual_cndmask_b32 v8, v8, v10 :: v_dual_add_nc_u32 v9, 1, v4
	s_delay_alu instid0(VALU_DEP_1) | instskip(NEXT) | instid1(VALU_DEP_2)
	v_cndmask_b32_e32 v4, v4, v9, vcc_lo
	v_cmp_le_u32_e32 vcc_lo, s24, v8
	s_delay_alu instid0(VALU_DEP_2) | instskip(NEXT) | instid1(VALU_DEP_1)
	v_add_nc_u32_e32 v9, 1, v4
	v_cndmask_b32_e32 v20, v4, v9, vcc_lo
.LBB0_6:                                ;   in Loop: Header=BB0_2 Depth=1
	s_or_b32 exec_lo, exec_lo, s2
	s_delay_alu instid0(VALU_DEP_1) | instskip(NEXT) | instid1(VALU_DEP_2)
	v_mul_lo_u32 v4, v21, s24
	v_mul_lo_u32 v10, v20, s25
	s_load_b64 s[2:3], s[14:15], 0x0
	v_mad_u64_u32 v[8:9], null, v20, s24, 0
	s_load_b64 s[24:25], s[12:13], 0x0
	s_add_u32 s22, s22, 1
	s_addc_u32 s23, s23, 0
	s_add_u32 s12, s12, 8
	s_addc_u32 s13, s13, 0
	s_add_u32 s14, s14, 8
	s_delay_alu instid0(VALU_DEP_1) | instskip(SKIP_3) | instid1(VALU_DEP_2)
	v_add3_u32 v4, v9, v10, v4
	v_sub_co_u32 v10, vcc_lo, v5, v8
	s_addc_u32 s15, s15, 0
	s_add_u32 s20, s20, 8
	v_sub_co_ci_u32_e32 v6, vcc_lo, v6, v4, vcc_lo
	s_addc_u32 s21, s21, 0
	s_waitcnt lgkmcnt(0)
	s_delay_alu instid0(VALU_DEP_1)
	v_mul_lo_u32 v11, s2, v6
	v_mul_lo_u32 v12, s3, v10
	v_mad_u64_u32 v[4:5], null, s2, v10, v[1:2]
	v_mul_lo_u32 v6, s24, v6
	v_mul_lo_u32 v13, s25, v10
	v_mad_u64_u32 v[8:9], null, s24, v10, v[16:17]
	v_cmp_ge_u64_e64 s2, s[22:23], s[10:11]
	v_add3_u32 v2, v12, v5, v11
	v_mov_b32_e32 v1, v4
	s_delay_alu instid0(VALU_DEP_4)
	v_add3_u32 v17, v13, v9, v6
	v_mov_b32_e32 v16, v8
	s_and_b32 vcc_lo, exec_lo, s2
	s_cbranch_vccnz .LBB0_9
; %bb.7:                                ;   in Loop: Header=BB0_2 Depth=1
	v_dual_mov_b32 v5, v20 :: v_dual_mov_b32 v6, v21
	s_branch .LBB0_2
.LBB0_8:
	v_dual_mov_b32 v17, v2 :: v_dual_mov_b32 v16, v1
	v_dual_mov_b32 v21, v6 :: v_dual_mov_b32 v20, v5
.LBB0_9:
	s_load_b64 s[0:1], s[0:1], 0x28
	s_lshl_b64 s[10:11], s[10:11], 3
	v_and_b32_e32 v18, 15, v0
	s_add_u32 s2, s18, s10
	s_addc_u32 s3, s19, s11
                                        ; implicit-def: $vgpr22
                                        ; implicit-def: $vgpr32
                                        ; implicit-def: $vgpr30
                                        ; implicit-def: $vgpr38
                                        ; implicit-def: $vgpr28
                                        ; implicit-def: $vgpr36
                                        ; implicit-def: $vgpr26
                                        ; implicit-def: $vgpr34
                                        ; implicit-def: $vgpr24
	s_waitcnt lgkmcnt(0)
	v_cmp_gt_u64_e32 vcc_lo, s[0:1], v[20:21]
	v_cmp_le_u64_e64 s0, s[0:1], v[20:21]
	s_delay_alu instid0(VALU_DEP_1) | instskip(NEXT) | instid1(SALU_CYCLE_1)
	s_and_saveexec_b32 s1, s0
	s_xor_b32 s0, exec_lo, s1
	s_cbranch_execz .LBB0_11
; %bb.10:
	v_dual_mov_b32 v19, 0 :: v_dual_and_b32 v18, 15, v0
                                        ; implicit-def: $vgpr1_vgpr2
	s_delay_alu instid0(VALU_DEP_1)
	v_or_b32_e32 v22, 16, v18
	v_or_b32_e32 v32, 0x50, v18
	;; [unrolled: 1-line block ×9, first 2 shown]
	v_mov_b32_e32 v23, v19
	v_mov_b32_e32 v39, v19
	;; [unrolled: 1-line block ×9, first 2 shown]
.LBB0_11:
	s_or_saveexec_b32 s1, s0
	v_mul_u32_u24_e32 v0, 0x141, v7
	s_delay_alu instid0(VALU_DEP_1)
	v_lshlrev_b32_e32 v40, 3, v0
	s_xor_b32 exec_lo, exec_lo, s1
	s_cbranch_execz .LBB0_13
; %bb.12:
	s_add_u32 s10, s16, s10
	s_addc_u32 s11, s17, s11
	v_lshlrev_b32_e32 v23, 3, v18
	s_load_b64 s[10:11], s[10:11], 0x0
	v_or_b32_e32 v22, 16, v18
	v_or_b32_e32 v38, 32, v18
	;; [unrolled: 1-line block ×3, first 2 shown]
	v_add3_u32 v65, 0, v40, v23
	v_mov_b32_e32 v19, 0
	v_or_b32_e32 v34, 64, v18
	v_or_b32_e32 v32, 0x50, v18
	;; [unrolled: 1-line block ×3, first 2 shown]
	v_add_nc_u32_e32 v66, 0x800, v65
	v_or_b32_e32 v28, 0x70, v18
	v_or_b32_e32 v26, 0x80, v18
	v_or_b32_e32 v24, 0x90, v18
	v_mov_b32_e32 v39, v19
	v_mov_b32_e32 v37, v19
	;; [unrolled: 1-line block ×7, first 2 shown]
	s_waitcnt lgkmcnt(0)
	v_mul_lo_u32 v0, s11, v20
	v_mul_lo_u32 v5, s10, v21
	v_mad_u64_u32 v[3:4], null, s10, v20, 0
	v_mov_b32_e32 v25, v19
	s_delay_alu instid0(VALU_DEP_2) | instskip(SKIP_1) | instid1(VALU_DEP_2)
	v_add3_u32 v4, v4, v5, v0
	v_lshlrev_b64 v[0:1], 3, v[1:2]
	v_lshlrev_b64 v[3:4], 3, v[3:4]
	s_delay_alu instid0(VALU_DEP_1) | instskip(NEXT) | instid1(VALU_DEP_1)
	v_add_co_u32 v2, s0, s4, v3
	v_add_co_ci_u32_e64 v3, s0, s5, v4, s0
	s_delay_alu instid0(VALU_DEP_2) | instskip(NEXT) | instid1(VALU_DEP_1)
	v_add_co_u32 v0, s0, v2, v0
	v_add_co_ci_u32_e64 v1, s0, v3, v1, s0
	s_delay_alu instid0(VALU_DEP_2) | instskip(NEXT) | instid1(VALU_DEP_1)
	v_add_co_u32 v0, s0, v0, v23
	v_add_co_ci_u32_e64 v1, s0, 0, v1, s0
	v_mov_b32_e32 v23, v19
	s_clause 0x13
	global_load_b64 v[2:3], v[0:1], off
	global_load_b64 v[4:5], v[0:1], off offset:128
	global_load_b64 v[6:7], v[0:1], off offset:256
	global_load_b64 v[8:9], v[0:1], off offset:384
	global_load_b64 v[10:11], v[0:1], off offset:512
	global_load_b64 v[12:13], v[0:1], off offset:640
	global_load_b64 v[14:15], v[0:1], off offset:768
	global_load_b64 v[41:42], v[0:1], off offset:896
	global_load_b64 v[43:44], v[0:1], off offset:1024
	global_load_b64 v[45:46], v[0:1], off offset:1152
	global_load_b64 v[47:48], v[0:1], off offset:1280
	global_load_b64 v[49:50], v[0:1], off offset:1408
	global_load_b64 v[51:52], v[0:1], off offset:1536
	global_load_b64 v[53:54], v[0:1], off offset:1664
	global_load_b64 v[55:56], v[0:1], off offset:1792
	global_load_b64 v[57:58], v[0:1], off offset:1920
	global_load_b64 v[59:60], v[0:1], off offset:2048
	global_load_b64 v[61:62], v[0:1], off offset:2176
	global_load_b64 v[63:64], v[0:1], off offset:2304
	global_load_b64 v[0:1], v[0:1], off offset:2432
	s_waitcnt vmcnt(18)
	ds_store_2addr_b64 v65, v[2:3], v[4:5] offset1:16
	s_waitcnt vmcnt(16)
	ds_store_2addr_b64 v65, v[6:7], v[8:9] offset0:32 offset1:48
	s_waitcnt vmcnt(14)
	ds_store_2addr_b64 v65, v[10:11], v[12:13] offset0:64 offset1:80
	;; [unrolled: 2-line block ×7, first 2 shown]
	s_waitcnt vmcnt(2)
	ds_store_2addr_b64 v66, v[59:60], v[61:62] offset1:16
	s_waitcnt vmcnt(0)
	ds_store_2addr_b64 v66, v[63:64], v[0:1] offset0:32 offset1:48
.LBB0_13:
	s_or_b32 exec_lo, exec_lo, s1
	v_lshlrev_b32_e32 v44, 3, v18
	s_load_b64 s[2:3], s[2:3], 0x0
	s_waitcnt lgkmcnt(0)
	s_barrier
	buffer_gl0_inv
	v_add3_u32 v45, 0, v44, v40
	v_cmp_gt_u32_e64 s0, 10, v18
	ds_load_2addr_b64 v[0:3], v45 offset0:16 offset1:32
	ds_load_2addr_b64 v[66:69], v45 offset0:80 offset1:96
	;; [unrolled: 1-line block ×4, first 2 shown]
	v_add_nc_u32_e32 v46, 0x800, v45
	v_add_nc_u32_e32 v42, 0, v40
	s_waitcnt lgkmcnt(2)
	v_dual_add_f32 v48, v2, v68 :: v_dual_add_f32 v49, v3, v69
	s_waitcnt lgkmcnt(0)
	v_sub_f32_e32 v47, v57, v72
	ds_load_2addr_b64 v[12:15], v46 offset0:16 offset1:32
	v_sub_f32_e32 v41, v58, v73
	v_sub_f32_e32 v61, v68, v57
	v_dual_add_f32 v50, v0, v66 :: v_dual_add_nc_u32 v43, v42, v44
	v_add_f32_e32 v51, v1, v67
	ds_load_2addr_b64 v[4:7], v45 offset0:48 offset1:64
	ds_load_2addr_b64 v[8:11], v45 offset0:112 offset1:128
	v_dual_add_f32 v64, v57, v72 :: v_dual_add_f32 v65, v58, v73
	v_dual_sub_f32 v78, v57, v68 :: v_dual_sub_f32 v79, v58, v69
	v_dual_sub_f32 v63, v69, v58 :: v_dual_add_f32 v76, v48, v57
	v_dual_add_f32 v53, v55, v70 :: v_dual_add_f32 v82, v50, v55
	v_dual_add_f32 v77, v49, v58 :: v_dual_sub_f32 v50, v56, v71
	v_sub_f32_e32 v49, v67, v56
	ds_load_b64 v[74:75], v43
	s_waitcnt lgkmcnt(3)
	v_dual_sub_f32 v52, v55, v66 :: v_dual_sub_f32 v59, v69, v15
	v_sub_f32_e32 v62, v68, v14
	v_dual_add_f32 v80, v68, v14 :: v_dual_add_f32 v81, v69, v15
	v_dual_sub_f32 v54, v66, v55 :: v_dual_add_f32 v83, v51, v56
	v_dual_add_f32 v51, v56, v71 :: v_dual_sub_f32 v48, v55, v70
	v_dual_sub_f32 v55, v56, v67 :: v_dual_add_f32 v60, v66, v12
	v_dual_sub_f32 v57, v67, v13 :: v_dual_sub_f32 v56, v66, v12
	v_dual_add_f32 v58, v67, v13 :: v_dual_sub_f32 v85, v73, v15
	ds_load_2addr_b64 v[66:69], v45 offset0:176 offset1:192
	v_dual_add_f32 v86, v76, v72 :: v_dual_add_f32 v87, v77, v73
	v_dual_sub_f32 v90, v12, v70 :: v_dual_sub_f32 v91, v70, v12
	v_add_f32_e32 v70, v82, v70
	v_sub_f32_e32 v84, v72, v14
	v_dual_sub_f32 v88, v14, v72 :: v_dual_sub_f32 v89, v15, v73
	v_add_f32_e32 v72, v83, v71
	v_sub_f32_e32 v83, v71, v13
	ds_load_b64 v[76:77], v45 offset:2432
	s_waitcnt lgkmcnt(2)
	v_dual_sub_f32 v82, v13, v71 :: v_dual_add_f32 v71, v74, v6
	v_dual_add_f32 v14, v86, v14 :: v_dual_add_f32 v15, v87, v15
	v_sub_f32_e32 v92, v10, v6
	v_dual_sub_f32 v94, v11, v7 :: v_dual_add_f32 v99, v4, v8
	s_delay_alu instid0(VALU_DEP_4)
	v_add_f32_e32 v95, v71, v10
	s_waitcnt lgkmcnt(1)
	v_sub_f32_e32 v97, v10, v68
	v_dual_add_f32 v86, v70, v12 :: v_dual_add_f32 v87, v72, v13
	v_dual_add_f32 v13, v75, v7 :: v_dual_add_nc_u32 v12, 0x400, v45
	v_dual_sub_f32 v102, v8, v66 :: v_dual_sub_f32 v103, v66, v8
	v_sub_f32_e32 v96, v11, v69
	ds_load_2addr_b64 v[70:73], v12 offset0:112 offset1:128
	v_add_f32_e32 v13, v13, v11
	v_add_f32_e32 v95, v95, v68
	s_waitcnt lgkmcnt(1)
	v_dual_add_f32 v100, v8, v76 :: v_dual_sub_f32 v101, v9, v77
	v_dual_add_f32 v104, v9, v77 :: v_dual_sub_f32 v105, v8, v76
	v_add_f32_e32 v8, v5, v9
	v_add_f32_e32 v13, v13, v69
	;; [unrolled: 1-line block ×3, first 2 shown]
	v_fma_f32 v81, -0.5, v81, v3
	v_dual_add_f32 v93, v11, v69 :: v_dual_add_f32 v98, v10, v68
	v_add_f32_e32 v108, v8, v67
	v_dual_sub_f32 v106, v9, v67 :: v_dual_sub_f32 v107, v67, v9
	s_delay_alu instid0(VALU_DEP_3)
	v_fma_f32 v93, -0.5, v93, v75
	v_add_f32_e32 v79, v79, v85
	v_fma_f32 v65, -0.5, v65, v3
	v_dual_sub_f32 v10, v6, v10 :: v_dual_sub_f32 v11, v7, v11
	s_waitcnt lgkmcnt(0)
	v_dual_sub_f32 v8, v68, v72 :: v_dual_sub_f32 v9, v69, v73
	v_dual_sub_f32 v68, v72, v68 :: v_dual_add_f32 v109, v7, v73
	s_delay_alu instid0(VALU_DEP_2)
	v_dual_sub_f32 v69, v73, v69 :: v_dual_add_f32 v92, v92, v8
	v_fma_f32 v8, -0.5, v80, v2
	v_fmamk_f32 v80, v47, 0xbf737871, v81
	v_dual_fmac_f32 v81, 0x3f737871, v47 :: v_dual_add_f32 v94, v94, v9
	v_dual_fmac_f32 v75, -0.5, v109 :: v_dual_add_f32 v78, v78, v84
	v_add_f32_e32 v109, v6, v72
	v_fmamk_f32 v85, v41, 0x3f737871, v8
	v_fmac_f32_e32 v8, 0xbf737871, v41
	v_dual_fmac_f32 v81, 0xbf167918, v62 :: v_dual_sub_f32 v110, v7, v73
	s_delay_alu instid0(VALU_DEP_4) | instskip(SKIP_1) | instid1(VALU_DEP_4)
	v_fma_f32 v109, -0.5, v109, v74
	v_sub_f32_e32 v112, v6, v72
	v_fmac_f32_e32 v8, 0x3f167918, v59
	s_delay_alu instid0(VALU_DEP_4)
	v_fmac_f32_e32 v81, 0x3e9e377a, v79
	v_dual_fmamk_f32 v111, v97, 0xbf737871, v75 :: v_dual_sub_f32 v116, v66, v70
	v_fmamk_f32 v84, v96, 0x3f737871, v109
	v_dual_fmac_f32 v109, 0xbf737871, v96 :: v_dual_sub_f32 v114, v67, v71
	v_add_f32_e32 v113, v66, v70
	v_add_f32_e32 v115, v67, v71
	v_fma_f32 v66, -0.5, v64, v2
	v_fmamk_f32 v64, v62, 0x3f737871, v65
	v_fma_f32 v74, -0.5, v98, v74
	v_add_f32_e32 v13, v13, v73
	v_fmamk_f32 v73, v112, 0x3f737871, v93
	v_dual_fmac_f32 v75, 0x3f737871, v97 :: v_dual_add_f32 v72, v95, v72
	v_mul_f32_e32 v9, 0xbf737871, v81
	v_dual_fmac_f32 v109, 0x3f167918, v110 :: v_dual_fmac_f32 v64, 0x3f167918, v47
	v_dual_fmac_f32 v8, 0x3e9e377a, v78 :: v_dual_add_f32 v69, v11, v69
	v_fmac_f32_e32 v73, 0x3f167918, v97
	v_dual_mul_f32 v81, 0xbe9e377a, v81 :: v_dual_add_f32 v68, v10, v68
	s_delay_alu instid0(VALU_DEP_4) | instskip(NEXT) | instid1(VALU_DEP_4)
	v_dual_fmac_f32 v109, 0x3e9e377a, v92 :: v_dual_add_f32 v2, v72, v14
	v_dual_fmac_f32 v9, 0xbe9e377a, v8 :: v_dual_sub_f32 v10, v72, v14
	v_fmac_f32_e32 v75, 0xbf167918, v112
	v_fmac_f32_e32 v73, 0x3e9e377a, v69
	v_fmamk_f32 v67, v59, 0xbf737871, v66
	v_dual_fmac_f32 v81, 0x3f737871, v8 :: v_dual_fmac_f32 v66, 0x3f737871, v59
	s_delay_alu instid0(VALU_DEP_4) | instskip(NEXT) | instid1(VALU_DEP_3)
	v_dual_add_f32 v6, v109, v9 :: v_dual_fmac_f32 v75, 0x3e9e377a, v94
	v_dual_fmac_f32 v67, 0xbf167918, v41 :: v_dual_fmac_f32 v84, 0xbf167918, v110
	v_sub_f32_e32 v8, v109, v9
	s_delay_alu instid0(VALU_DEP_4) | instskip(NEXT) | instid1(VALU_DEP_4)
	v_fmac_f32_e32 v66, 0x3f167918, v41
	v_add_f32_e32 v7, v75, v81
	v_sub_f32_e32 v9, v75, v81
	v_dual_add_f32 v75, v61, v88 :: v_dual_fmac_f32 v80, 0x3f167918, v62
	v_dual_fmac_f32 v84, 0x3e9e377a, v92 :: v_dual_add_f32 v3, v13, v15
	s_delay_alu instid0(VALU_DEP_2) | instskip(NEXT) | instid1(VALU_DEP_3)
	v_dual_add_f32 v61, v63, v89 :: v_dual_fmac_f32 v66, 0x3e9e377a, v75
	v_fmac_f32_e32 v80, 0x3e9e377a, v79
	v_fmac_f32_e32 v67, 0x3e9e377a, v75
	;; [unrolled: 1-line block ×3, first 2 shown]
	s_delay_alu instid0(VALU_DEP_4)
	v_fmac_f32_e32 v64, 0x3e9e377a, v61
	v_fmac_f32_e32 v85, 0xbf167918, v59
	v_fmac_f32_e32 v65, 0xbf737871, v62
	v_mul_f32_e32 v88, 0x3f167918, v67
	v_fmac_f32_e32 v111, 0x3e9e377a, v94
	v_mul_f32_e32 v81, 0xbf167918, v64
	v_fmac_f32_e32 v85, 0x3e9e377a, v78
	v_fmac_f32_e32 v65, 0xbf167918, v47
	;; [unrolled: 1-line block ×4, first 2 shown]
	s_barrier
	s_delay_alu instid0(VALU_DEP_2) | instskip(SKIP_3) | instid1(VALU_DEP_4)
	v_dual_fmac_f32 v65, 0x3e9e377a, v61 :: v_dual_sub_f32 v64, v73, v88
	v_fmac_f32_e32 v81, 0x3f4f1bbd, v67
	v_mul_f32_e32 v67, 0x3e9e377a, v80
	v_fmac_f32_e32 v93, 0xbf167918, v97
	v_mul_f32_e32 v41, 0xbf167918, v65
	v_dual_mul_f32 v47, 0xbf4f1bbd, v65 :: v_dual_add_f32 v14, v73, v88
	s_delay_alu instid0(VALU_DEP_4) | instskip(SKIP_3) | instid1(VALU_DEP_4)
	v_fmac_f32_e32 v67, 0x3f737871, v85
	v_fmamk_f32 v63, v110, 0xbf737871, v74
	v_fmac_f32_e32 v74, 0x3f737871, v110
	v_fmac_f32_e32 v41, 0xbf4f1bbd, v66
	v_dual_fmac_f32 v47, 0x3f167918, v66 :: v_dual_add_f32 v62, v111, v67
	v_sub_f32_e32 v66, v111, v67
	s_delay_alu instid0(VALU_DEP_4) | instskip(SKIP_4) | instid1(VALU_DEP_1)
	v_dual_fmac_f32 v74, 0x3f167918, v96 :: v_dual_sub_f32 v11, v13, v15
	v_mul_f32_e32 v15, 0xbf737871, v80
	v_fmac_f32_e32 v93, 0x3e9e377a, v69
	buffer_gl0_inv
	v_fmac_f32_e32 v74, 0x3e9e377a, v68
	v_add_f32_e32 v67, v74, v41
	v_sub_f32_e32 v59, v74, v41
	v_fma_f32 v74, -0.5, v51, v1
	s_delay_alu instid0(VALU_DEP_1) | instskip(SKIP_1) | instid1(VALU_DEP_2)
	v_dual_fmac_f32 v1, -0.5, v58 :: v_dual_fmamk_f32 v58, v56, 0x3f737871, v74
	v_fmac_f32_e32 v74, 0xbf737871, v56
	v_fmamk_f32 v72, v48, 0xbf737871, v1
	v_fmac_f32_e32 v1, 0x3f737871, v48
	s_delay_alu instid0(VALU_DEP_4) | instskip(NEXT) | instid1(VALU_DEP_4)
	v_fmac_f32_e32 v58, 0x3f167918, v48
	v_fmac_f32_e32 v74, 0xbf167918, v48
	v_add_f32_e32 v48, v55, v83
	v_fmac_f32_e32 v72, 0x3f167918, v56
	v_fmac_f32_e32 v1, 0xbf167918, v56
	;; [unrolled: 1-line block ×3, first 2 shown]
	s_delay_alu instid0(VALU_DEP_3) | instskip(NEXT) | instid1(VALU_DEP_3)
	v_fmac_f32_e32 v72, 0x3e9e377a, v48
	v_fmac_f32_e32 v1, 0x3e9e377a, v48
	v_dual_sub_f32 v48, v70, v76 :: v_dual_fmac_f32 v15, 0x3e9e377a, v85
	s_delay_alu instid0(VALU_DEP_4) | instskip(NEXT) | instid1(VALU_DEP_2)
	v_dual_fmac_f32 v63, 0x3e9e377a, v68 :: v_dual_add_f32 v68, v93, v47
	v_add_f32_e32 v61, v84, v15
	v_sub_f32_e32 v65, v84, v15
	v_fma_f32 v15, -0.5, v53, v0
	v_fma_f32 v0, -0.5, v60, v0
	v_dual_sub_f32 v60, v93, v47 :: v_dual_add_f32 v47, v54, v90
	s_delay_alu instid0(VALU_DEP_3) | instskip(SKIP_1) | instid1(VALU_DEP_4)
	v_fmamk_f32 v41, v57, 0xbf737871, v15
	v_fmac_f32_e32 v15, 0x3f737871, v57
	v_fmamk_f32 v69, v50, 0x3f737871, v0
	v_fmac_f32_e32 v0, 0xbf737871, v50
	s_delay_alu instid0(VALU_DEP_4) | instskip(NEXT) | instid1(VALU_DEP_4)
	v_fmac_f32_e32 v41, 0xbf167918, v50
	v_dual_fmac_f32 v15, 0x3f167918, v50 :: v_dual_add_f32 v50, v52, v91
	v_fma_f32 v52, -0.5, v100, v4
	v_fmac_f32_e32 v69, 0xbf167918, v57
	v_fmac_f32_e32 v0, 0x3f167918, v57
	s_delay_alu instid0(VALU_DEP_3) | instskip(SKIP_1) | instid1(VALU_DEP_3)
	v_dual_add_f32 v13, v63, v81 :: v_dual_fmamk_f32 v54, v114, 0x3f737871, v52
	v_fmac_f32_e32 v52, 0xbf737871, v114
	v_fmac_f32_e32 v0, 0x3e9e377a, v50
	;; [unrolled: 1-line block ×3, first 2 shown]
	v_fma_f32 v50, -0.5, v113, v4
	v_add_f32_e32 v4, v103, v48
	v_fmac_f32_e32 v54, 0xbf167918, v101
	v_fmac_f32_e32 v52, 0x3f167918, v101
	;; [unrolled: 1-line block ×4, first 2 shown]
	v_add_f32_e32 v47, v49, v82
	v_sub_f32_e32 v63, v63, v81
	v_add_f32_e32 v48, v99, v70
	v_fmac_f32_e32 v54, 0x3e9e377a, v4
	v_fmac_f32_e32 v52, 0x3e9e377a, v4
	;; [unrolled: 1-line block ×3, first 2 shown]
	v_dual_fmac_f32 v74, 0x3e9e377a, v47 :: v_dual_sub_f32 v47, v76, v70
	v_fmamk_f32 v53, v101, 0xbf737871, v50
	v_fmac_f32_e32 v50, 0x3f737871, v101
	v_add_f32_e32 v4, v108, v71
	v_sub_f32_e32 v49, v77, v71
	s_delay_alu instid0(VALU_DEP_3) | instskip(NEXT) | instid1(VALU_DEP_3)
	v_dual_add_f32 v47, v102, v47 :: v_dual_fmac_f32 v50, 0x3f167918, v114
	v_add_f32_e32 v75, v4, v77
	v_fmac_f32_e32 v53, 0xbf167918, v114
	s_delay_alu instid0(VALU_DEP_3) | instskip(SKIP_1) | instid1(VALU_DEP_3)
	v_dual_fmac_f32 v50, 0x3e9e377a, v47 :: v_dual_add_f32 v55, v48, v76
	v_fma_f32 v48, -0.5, v115, v5
	v_fmac_f32_e32 v53, 0x3e9e377a, v47
	s_delay_alu instid0(VALU_DEP_2) | instskip(SKIP_1) | instid1(VALU_DEP_2)
	v_dual_add_f32 v47, v106, v49 :: v_dual_fmamk_f32 v56, v105, 0x3f737871, v48
	v_fmac_f32_e32 v48, 0xbf737871, v105
	v_fmac_f32_e32 v56, 0x3f167918, v116
	s_delay_alu instid0(VALU_DEP_2) | instskip(NEXT) | instid1(VALU_DEP_2)
	v_fmac_f32_e32 v48, 0xbf167918, v116
	v_fmac_f32_e32 v56, 0x3e9e377a, v47
	s_delay_alu instid0(VALU_DEP_2) | instskip(NEXT) | instid1(VALU_DEP_2)
	v_fmac_f32_e32 v48, 0x3e9e377a, v47
	v_mul_f32_e32 v70, 0xbf167918, v56
	s_delay_alu instid0(VALU_DEP_2) | instskip(SKIP_2) | instid1(VALU_DEP_3)
	v_mul_f32_e32 v80, 0xbf4f1bbd, v48
	v_fmac_f32_e32 v5, -0.5, v104
	v_mul_f32_e32 v76, 0xbf167918, v48
	v_fmac_f32_e32 v80, 0x3f167918, v50
	s_delay_alu instid0(VALU_DEP_3)
	v_fmamk_f32 v57, v116, 0xbf737871, v5
	v_sub_f32_e32 v49, v71, v77
	v_fmac_f32_e32 v5, 0x3f737871, v116
	v_mul_f32_e32 v77, 0x3f167918, v53
	v_fmac_f32_e32 v76, 0xbf4f1bbd, v50
	v_fmac_f32_e32 v57, 0x3f167918, v105
	v_add_f32_e32 v49, v107, v49
	v_fmac_f32_e32 v5, 0xbf167918, v105
	v_dual_fmac_f32 v77, 0x3f4f1bbd, v56 :: v_dual_add_f32 v4, v86, v55
	v_sub_f32_e32 v55, v86, v55
	s_delay_alu instid0(VALU_DEP_4) | instskip(NEXT) | instid1(VALU_DEP_4)
	v_fmac_f32_e32 v57, 0x3e9e377a, v49
	v_fmac_f32_e32 v5, 0x3e9e377a, v49
	s_delay_alu instid0(VALU_DEP_4)
	v_add_f32_e32 v48, v58, v77
	v_sub_f32_e32 v58, v58, v77
	v_fmac_f32_e32 v70, 0x3f4f1bbd, v53
	v_mul_f32_e32 v71, 0xbf737871, v57
	v_mul_f32_e32 v73, 0xbf737871, v5
	;; [unrolled: 1-line block ×4, first 2 shown]
	v_add_f32_e32 v47, v41, v70
	v_fmac_f32_e32 v71, 0x3e9e377a, v54
	v_fmac_f32_e32 v73, 0xbe9e377a, v52
	s_delay_alu instid0(VALU_DEP_4) | instskip(SKIP_1) | instid1(VALU_DEP_4)
	v_dual_fmac_f32 v78, 0x3f737871, v54 :: v_dual_fmac_f32 v79, 0x3f737871, v52
	v_sub_f32_e32 v57, v41, v70
	v_add_f32_e32 v49, v69, v71
	s_delay_alu instid0(VALU_DEP_4)
	v_add_f32_e32 v51, v0, v73
	v_sub_f32_e32 v69, v69, v71
	v_sub_f32_e32 v71, v0, v73
	v_mul_u32_u24_e32 v0, 10, v18
	v_add_f32_e32 v50, v72, v78
	v_add_f32_e32 v52, v1, v79
	v_sub_f32_e32 v70, v72, v78
	v_dual_sub_f32 v72, v1, v79 :: v_dual_and_b32 v1, 0xff, v22
	v_lshl_add_u32 v0, v0, 3, v42
	v_add_nc_u32_e32 v41, -10, v18
	v_add_f32_e32 v53, v15, v76
	v_sub_f32_e32 v73, v15, v76
	v_mul_i32_i24_e32 v15, 10, v22
	v_mul_lo_u16 v1, 0xcd, v1
	ds_store_2addr_b64 v0, v[2:3], v[13:14] offset1:1
	ds_store_2addr_b64 v0, v[61:62], v[6:7] offset0:2 offset1:3
	v_cndmask_b32_e64 v6, v41, v18, s0
	v_add_f32_e32 v5, v87, v75
	v_lshl_add_u32 v15, v15, 3, v42
	v_lshrrev_b16 v2, 11, v1
	ds_store_2addr_b64 v0, v[67:68], v[10:11] offset0:4 offset1:5
	ds_store_2addr_b64 v0, v[63:64], v[65:66] offset0:6 offset1:7
	;; [unrolled: 1-line block ×3, first 2 shown]
	v_mul_i32_i24_e32 v0, 3, v6
	v_mov_b32_e32 v1, 0
	ds_store_2addr_b64 v15, v[4:5], v[47:48] offset1:1
	ds_store_2addr_b64 v15, v[49:50], v[51:52] offset0:2 offset1:3
	v_mul_lo_u16 v5, v2, 10
	v_dual_add_f32 v54, v74, v80 :: v_dual_and_b32 v7, 0xff, v38
	v_lshlrev_b64 v[3:4], 3, v[0:1]
	v_sub_f32_e32 v56, v87, v75
	s_delay_alu instid0(VALU_DEP_4) | instskip(NEXT) | instid1(VALU_DEP_4)
	v_sub_nc_u16 v0, v22, v5
	v_mul_lo_u16 v5, 0xcd, v7
	v_sub_f32_e32 v74, v74, v80
	v_and_b32_e32 v7, 0xff, v36
	v_add_co_u32 v9, s0, s8, v3
	s_delay_alu instid0(VALU_DEP_4)
	v_lshrrev_b16 v3, 11, v5
	v_add_co_ci_u32_e64 v10, s0, s9, v4, s0
	v_and_b32_e32 v0, 0xff, v0
	ds_store_2addr_b64 v15, v[53:54], v[55:56] offset0:4 offset1:5
	ds_store_2addr_b64 v15, v[57:58], v[69:70] offset0:6 offset1:7
	v_mul_lo_u16 v4, v3, 10
	ds_store_2addr_b64 v15, v[71:72], v[73:74] offset0:8 offset1:9
	s_waitcnt lgkmcnt(0)
	v_mul_u32_u24_e32 v5, 3, v0
	s_barrier
	v_sub_nc_u16 v4, v38, v4
	buffer_gl0_inv
	global_load_b128 v[49:52], v[9:10], off
	v_lshlrev_b32_e32 v8, 3, v5
	v_mul_lo_u16 v5, 0xcd, v7
	v_and_b32_e32 v4, 0xff, v4
	v_and_b32_e32 v11, 0xff, v34
	v_lshl_add_u32 v48, v32, 3, v42
	s_clause 0x1
	global_load_b128 v[56:59], v8, s[8:9]
	global_load_b64 v[13:14], v8, s[8:9] offset:16
	v_lshrrev_b16 v5, 11, v5
	v_mul_u32_u24_e32 v7, 3, v4
	v_mad_i32_i24 v55, 0xffffffb8, v22, v15
	v_cmp_lt_u32_e64 s0, 9, v18
	v_and_b32_e32 v3, 0xffff, v3
	v_mul_lo_u16 v8, v5, 10
	v_lshlrev_b32_e32 v41, 3, v7
	v_mul_lo_u16 v7, 0xcd, v11
	v_and_b32_e32 v5, 0xffff, v5
	v_mad_u32_u24 v3, 0x140, v3, 0
	v_sub_nc_u16 v11, v36, v8
	s_clause 0x1
	global_load_b64 v[80:81], v41, s[8:9] offset:16
	global_load_b128 v[60:63], v41, s[8:9]
	v_lshrrev_b16 v8, 11, v7
	v_lshlrev_b32_e32 v6, 3, v6
	v_and_b32_e32 v7, 0xff, v11
	v_and_b32_e32 v2, 0xffff, v2
	v_lshlrev_b32_e32 v0, 3, v0
	v_mul_lo_u16 v11, v8, 10
	v_lshlrev_b32_e32 v4, 3, v4
	v_mul_u32_u24_e32 v41, 3, v7
	v_mad_u32_u24 v2, 0x140, v2, 0
	s_delay_alu instid0(VALU_DEP_4) | instskip(NEXT) | instid1(VALU_DEP_4)
	v_sub_nc_u16 v11, v34, v11
	v_add3_u32 v3, v3, v4, v40
	s_delay_alu instid0(VALU_DEP_4) | instskip(NEXT) | instid1(VALU_DEP_4)
	v_lshlrev_b32_e32 v41, 3, v41
	v_add3_u32 v0, v2, v0, v40
	v_mad_u32_u24 v2, 0x140, v5, 0
	v_and_b32_e32 v11, 0xff, v11
	global_load_b128 v[64:67], v41, s[8:9]
	v_mul_u32_u24_e32 v47, 3, v11
	s_delay_alu instid0(VALU_DEP_1)
	v_lshlrev_b32_e32 v47, 3, v47
	s_clause 0x3
	global_load_b64 v[9:10], v[9:10], off offset:16
	global_load_b128 v[68:71], v47, s[8:9]
	global_load_b64 v[82:83], v41, s[8:9] offset:16
	global_load_b64 v[84:85], v47, s[8:9] offset:16
	ds_load_b64 v[53:54], v48
	ds_load_2addr_b64 v[72:75], v45 offset0:160 offset1:176
	v_lshl_add_u32 v47, v30, 3, v42
	ds_load_b64 v[86:87], v47
	ds_load_2addr_b64 v[76:79], v46 offset1:16
	ds_load_b64 v[88:89], v55
	ds_load_b64 v[90:91], v43
	s_waitcnt vmcnt(9) lgkmcnt(5)
	v_mul_f32_e32 v41, v50, v54
	v_mul_f32_e32 v15, v50, v53
	v_lshl_add_u32 v50, v28, 3, v42
	s_waitcnt lgkmcnt(4)
	v_mul_f32_e32 v96, v73, v52
	v_dual_mul_f32 v52, v72, v52 :: v_dual_fmac_f32 v41, v49, v53
	v_fma_f32 v97, v49, v54, -v15
	ds_load_b64 v[92:93], v50
	s_waitcnt vmcnt(8)
	v_mul_f32_e32 v98, v75, v59
	v_fma_f32 v99, v73, v51, -v52
	v_mul_f32_e32 v15, v74, v59
	s_waitcnt vmcnt(7) lgkmcnt(3)
	v_dual_mul_f32 v49, v86, v57 :: v_dual_mul_f32 v102, v77, v14
	v_mul_f32_e32 v52, v76, v14
	v_fmac_f32_e32 v96, v72, v51
	v_mul_f32_e32 v100, v87, v57
	v_fmac_f32_e32 v98, v74, v58
	v_fma_f32 v101, v75, v58, -v15
	ds_load_2addr_b64 v[72:75], v45 offset0:192 offset1:208
	v_fma_f32 v103, v87, v56, -v49
	v_lshl_add_u32 v49, v26, 3, v42
	v_fmac_f32_e32 v102, v76, v13
	s_waitcnt vmcnt(6)
	v_mul_f32_e32 v104, v79, v81
	v_lshl_add_u32 v51, v36, 3, v42
	v_fma_f32 v105, v77, v13, -v52
	v_mul_f32_e32 v13, v78, v81
	v_lshl_add_u32 v53, v38, 3, v42
	v_fmac_f32_e32 v100, v86, v56
	ds_load_b64 v[14:15], v49
	v_fmac_f32_e32 v104, v78, v80
	ds_load_b64 v[86:87], v51
	ds_load_b64 v[94:95], v53
	s_waitcnt vmcnt(5) lgkmcnt(4)
	v_mul_f32_e32 v81, v93, v61
	ds_load_2addr_b64 v[56:59], v45 offset0:224 offset1:240
	v_fma_f32 v80, v79, v80, -v13
	v_mul_f32_e32 v13, v92, v61
	v_lshl_add_u32 v52, v24, 3, v42
	v_fmac_f32_e32 v81, v92, v60
	ds_load_2addr_b64 v[76:79], v46 offset0:32 offset1:48
	s_waitcnt lgkmcnt(5)
	v_mul_f32_e32 v106, v73, v63
	v_fma_f32 v92, v93, v60, -v13
	ds_load_b64 v[60:61], v52
	v_mul_f32_e32 v54, v72, v63
	s_waitcnt vmcnt(4)
	v_dual_mul_f32 v13, v74, v67 :: v_dual_fmac_f32 v106, v72, v62
	v_mul_f32_e32 v72, v75, v67
	s_delay_alu instid0(VALU_DEP_2)
	v_fma_f32 v67, v75, v66, -v13
	s_waitcnt lgkmcnt(5)
	v_mul_f32_e32 v93, v15, v65
	v_mul_f32_e32 v63, v14, v65
	v_fma_f32 v65, v73, v62, -v54
	v_lshl_add_u32 v54, v34, 3, v42
	s_waitcnt vmcnt(3) lgkmcnt(2)
	v_mul_f32_e32 v13, v59, v10
	s_waitcnt vmcnt(2)
	v_dual_mul_f32 v10, v58, v10 :: v_dual_mul_f32 v107, v57, v71
	v_dual_fmac_f32 v93, v14, v64 :: v_dual_mul_f32 v14, v56, v71
	s_delay_alu instid0(VALU_DEP_3) | instskip(NEXT) | instid1(VALU_DEP_3)
	v_fmac_f32_e32 v13, v58, v9
	v_fma_f32 v58, v59, v9, -v10
	s_delay_alu instid0(VALU_DEP_4)
	v_fmac_f32_e32 v107, v56, v70
	ds_load_b64 v[9:10], v54
	s_waitcnt lgkmcnt(1)
	v_mul_f32_e32 v56, v60, v69
	v_mul_f32_e32 v108, v61, v69
	v_fma_f32 v109, v57, v70, -v14
	s_waitcnt vmcnt(1)
	v_mul_f32_e32 v69, v77, v83
	v_mul_f32_e32 v14, v76, v83
	v_fma_f32 v83, v61, v68, -v56
	v_sub_f32_e32 v57, v41, v13
	v_dual_sub_f32 v61, v91, v99 :: v_dual_sub_f32 v56, v97, v58
	v_fmac_f32_e32 v108, v60, v68
	v_fma_f32 v68, v77, v82, -v14
	s_waitcnt vmcnt(0)
	v_mul_f32_e32 v14, v78, v85
	v_sub_f32_e32 v60, v90, v96
	v_fma_f32 v13, v41, 2.0, -v57
	v_fma_f32 v41, v91, 2.0, -v61
	;; [unrolled: 1-line block ×3, first 2 shown]
	v_fma_f32 v77, v79, v84, -v14
	v_fma_f32 v58, v90, 2.0, -v60
	v_cndmask_b32_e64 v62, 0, 0x140, s0
	v_fmac_f32_e32 v72, v74, v66
	v_sub_f32_e32 v14, v41, v59
	v_fma_f32 v15, v15, v64, -v63
	v_dual_sub_f32 v13, v58, v13 :: v_dual_add_f32 v56, v60, v56
	v_dual_sub_f32 v57, v61, v57 :: v_dual_add_nc_u32 v62, 0, v62
	s_delay_alu instid0(VALU_DEP_4)
	v_fma_f32 v59, v41, 2.0, -v14
	v_dual_sub_f32 v41, v88, v98 :: v_dual_sub_f32 v66, v89, v101
	v_sub_f32_e32 v64, v100, v102
	v_sub_f32_e32 v70, v103, v105
	v_fma_f32 v58, v58, 2.0, -v13
	v_fma_f32 v60, v60, 2.0, -v56
	;; [unrolled: 1-line block ×7, first 2 shown]
	v_add3_u32 v6, v62, v6, v40
	v_fmac_f32_e32 v69, v76, v82
	s_waitcnt lgkmcnt(0)
	v_dual_sub_f32 v62, v71, v63 :: v_dual_sub_f32 v63, v73, v74
	s_barrier
	buffer_gl0_inv
	ds_store_2addr_b64 v6, v[58:59], v[60:61] offset1:10
	ds_store_2addr_b64 v6, v[13:14], v[56:57] offset0:20 offset1:30
	v_and_b32_e32 v6, 0xffff, v8
	v_mul_f32_e32 v110, v79, v85
	v_fma_f32 v58, v71, 2.0, -v62
	v_fma_f32 v59, v73, 2.0, -v63
	v_sub_f32_e32 v74, v94, v106
	v_dual_add_f32 v60, v41, v70 :: v_dual_sub_f32 v75, v95, v65
	v_sub_f32_e32 v73, v92, v80
	v_mad_u32_u24 v4, 0x140, v6, 0
	v_lshlrev_b32_e32 v6, 3, v11
	v_sub_f32_e32 v80, v93, v69
	v_sub_f32_e32 v71, v81, v104
	v_fmac_f32_e32 v110, v78, v84
	v_sub_f32_e32 v61, v66, v64
	v_fma_f32 v70, v94, 2.0, -v74
	v_fma_f32 v64, v41, 2.0, -v60
	;; [unrolled: 1-line block ×5, first 2 shown]
	v_dual_sub_f32 v79, v86, v72 :: v_dual_sub_f32 v82, v87, v67
	v_sub_f32_e32 v81, v15, v68
	v_fma_f32 v65, v66, 2.0, -v61
	s_delay_alu instid0(VALU_DEP_4) | instskip(NEXT) | instid1(VALU_DEP_4)
	v_dual_sub_f32 v66, v70, v76 :: v_dual_sub_f32 v67, v41, v78
	v_fma_f32 v76, v86, 2.0, -v79
	v_fma_f32 v78, v87, 2.0, -v82
	;; [unrolled: 1-line block ×5, first 2 shown]
	v_add_f32_e32 v70, v74, v73
	v_sub_f32_e32 v84, v108, v110
	s_delay_alu instid0(VALU_DEP_4)
	v_dual_sub_f32 v72, v76, v69 :: v_dual_sub_f32 v73, v78, v15
	v_fma_f32 v69, v41, 2.0, -v67
	v_sub_f32_e32 v15, v9, v107
	v_sub_f32_e32 v41, v10, v109
	;; [unrolled: 1-line block ×3, first 2 shown]
	v_lshlrev_b32_e32 v5, 3, v7
	v_sub_f32_e32 v85, v83, v77
	v_fma_f32 v86, v9, 2.0, -v15
	v_fma_f32 v87, v10, 2.0, -v41
	v_dual_add_f32 v9, v79, v81 :: v_dual_sub_f32 v10, v82, v80
	v_fma_f32 v81, v108, 2.0, -v84
	v_fma_f32 v74, v74, 2.0, -v70
	;; [unrolled: 1-line block ×7, first 2 shown]
	v_add3_u32 v2, v2, v5, v40
	v_fma_f32 v83, v83, 2.0, -v85
	v_sub_f32_e32 v80, v86, v81
	v_add_f32_e32 v82, v15, v85
	ds_store_2addr_b64 v0, v[58:59], v[64:65] offset1:10
	ds_store_2addr_b64 v0, v[62:63], v[60:61] offset0:20 offset1:30
	ds_store_2addr_b64 v3, v[68:69], v[74:75] offset1:10
	ds_store_2addr_b64 v3, v[66:67], v[70:71] offset0:20 offset1:30
	;; [unrolled: 2-line block ×3, first 2 shown]
	v_mul_i32_i24_e32 v0, 3, v22
	v_add_nc_u32_e32 v2, -8, v18
	v_cmp_gt_u32_e64 s0, 40, v38
	v_sub_f32_e32 v81, v87, v83
	v_sub_f32_e32 v83, v41, v84
	v_fma_f32 v84, v86, 2.0, -v80
	v_fma_f32 v86, v15, 2.0, -v82
	v_cndmask_b32_e64 v15, v2, v38, s0
	v_lshlrev_b64 v[2:3], 3, v[0:1]
	v_mul_u32_u24_e32 v5, 3, v18
	v_fma_f32 v85, v87, 2.0, -v81
	v_fma_f32 v87, v41, 2.0, -v83
	v_mul_i32_i24_e32 v0, 3, v15
	v_add3_u32 v4, v4, v6, v40
	v_add_co_u32 v10, s0, s8, v2
	v_lshlrev_b32_e32 v41, 3, v5
	v_add_co_ci_u32_e64 v11, s0, s9, v3, s0
	v_lshlrev_b64 v[0:1], 3, v[0:1]
	ds_store_2addr_b64 v4, v[84:85], v[86:87] offset1:10
	ds_store_2addr_b64 v4, v[80:81], v[82:83] offset0:20 offset1:30
	s_waitcnt lgkmcnt(0)
	s_barrier
	buffer_gl0_inv
	s_clause 0x1
	global_load_b128 v[2:5], v41, s[8:9] offset:240
	global_load_b128 v[6:9], v[10:11], off offset:240
	v_add_co_u32 v0, s0, s8, v0
	s_delay_alu instid0(VALU_DEP_1)
	v_add_co_ci_u32_e64 v1, s0, s9, v1, s0
	s_clause 0x7
	global_load_b64 v[10:11], v[10:11], off offset:256
	global_load_b64 v[13:14], v[0:1], off offset:256
	global_load_b128 v[56:59], v[0:1], off offset:240
	global_load_b128 v[60:63], v41, s[8:9] offset:432
	global_load_b64 v[0:1], v41, s[8:9] offset:256
	global_load_b128 v[64:67], v41, s[8:9] offset:816
	global_load_b64 v[88:89], v41, s[8:9] offset:448
	global_load_b64 v[90:91], v41, s[8:9] offset:832
	ds_load_b64 v[92:93], v48
	ds_load_2addr_b64 v[68:71], v45 offset0:160 offset1:176
	ds_load_b64 v[94:95], v47
	ds_load_2addr_b64 v[72:75], v46 offset1:16
	ds_load_2addr_b64 v[76:79], v45 offset0:192 offset1:208
	ds_load_2addr_b64 v[80:83], v45 offset0:224 offset1:240
	ds_load_2addr_b64 v[84:87], v46 offset0:32 offset1:48
	ds_load_b64 v[96:97], v55
	ds_load_b64 v[98:99], v43
	;; [unrolled: 1-line block ×8, first 2 shown]
	v_cmp_lt_u32_e64 s0, 39, v38
	v_lshlrev_b32_e32 v15, 3, v15
	s_waitcnt vmcnt(0) lgkmcnt(0)
	s_barrier
	buffer_gl0_inv
	v_cndmask_b32_e64 v41, 0, 0x500, s0
	s_delay_alu instid0(VALU_DEP_1) | instskip(NEXT) | instid1(VALU_DEP_1)
	v_add_nc_u32_e32 v41, 0, v41
	v_add3_u32 v15, v41, v15, v40
	v_mul_f32_e32 v113, v5, v69
	v_mul_f32_e32 v114, v71, v9
	v_mul_f32_e32 v9, v70, v9
	s_delay_alu instid0(VALU_DEP_3) | instskip(NEXT) | instid1(VALU_DEP_3)
	v_dual_mul_f32 v112, v3, v93 :: v_dual_fmac_f32 v113, v4, v68
	v_fmac_f32_e32 v114, v70, v8
	s_delay_alu instid0(VALU_DEP_3)
	v_fma_f32 v8, v71, v8, -v9
	v_mul_f32_e32 v9, v77, v59
	v_mul_f32_e32 v70, v1, v83
	;; [unrolled: 1-line block ×5, first 2 shown]
	v_fmac_f32_e32 v9, v76, v58
	v_fmac_f32_e32 v70, v0, v82
	v_fma_f32 v0, v0, v83, -v1
	v_fmac_f32_e32 v71, v80, v66
	v_fma_f32 v1, v81, v66, -v67
	v_sub_f32_e32 v67, v106, v9
	v_mul_f32_e32 v5, v5, v68
	v_fmac_f32_e32 v112, v2, v92
	v_sub_f32_e32 v80, v110, v71
	v_dual_mul_f32 v115, v7, v95 :: v_dual_mul_f32 v68, v105, v57
	s_delay_alu instid0(VALU_DEP_4) | instskip(SKIP_4) | instid1(VALU_DEP_4)
	v_fma_f32 v4, v4, v69, -v5
	v_mul_f32_e32 v69, v79, v63
	v_mul_f32_e32 v5, v75, v14
	v_dual_mul_f32 v14, v74, v14 :: v_dual_mul_f32 v57, v104, v57
	v_mul_f32_e32 v59, v76, v59
	v_fmac_f32_e32 v69, v78, v62
	v_mul_f32_e32 v63, v78, v63
	v_fmac_f32_e32 v115, v6, v94
	v_fmac_f32_e32 v5, v74, v13
	v_fma_f32 v13, v75, v13, -v14
	v_sub_f32_e32 v69, v102, v69
	v_dual_mul_f32 v3, v3, v92 :: v_dual_mul_f32 v14, v85, v89
	v_mul_f32_e32 v74, v86, v91
	v_fmac_f32_e32 v68, v104, v56
	s_delay_alu instid0(VALU_DEP_4)
	v_fma_f32 v82, v102, 2.0, -v69
	v_mul_f32_e32 v7, v7, v94
	v_fma_f32 v2, v2, v93, -v3
	v_mul_f32_e32 v3, v73, v11
	v_mul_f32_e32 v11, v72, v11
	v_fma_f32 v56, v105, v56, -v57
	v_fma_f32 v6, v6, v95, -v7
	v_mul_f32_e32 v7, v101, v61
	v_mul_f32_e32 v61, v100, v61
	v_fmac_f32_e32 v3, v72, v10
	v_fma_f32 v10, v73, v10, -v11
	v_mul_f32_e32 v11, v109, v65
	v_mul_f32_e32 v65, v108, v65
	v_dual_mul_f32 v72, v84, v89 :: v_dual_mul_f32 v73, v87, v91
	v_fma_f32 v57, v77, v58, -v59
	v_fma_f32 v58, v79, v62, -v63
	v_fmac_f32_e32 v7, v100, v60
	v_fma_f32 v59, v101, v60, -v61
	v_fmac_f32_e32 v11, v108, v64
	;; [unrolled: 2-line block ×4, first 2 shown]
	v_fma_f32 v62, v87, v90, -v74
	v_dual_sub_f32 v63, v98, v113 :: v_dual_sub_f32 v64, v99, v4
	v_sub_f32_e32 v4, v112, v70
	v_dual_sub_f32 v0, v2, v0 :: v_dual_sub_f32 v65, v96, v114
	v_dual_sub_f32 v66, v97, v8 :: v_dual_sub_f32 v3, v115, v3
	v_sub_f32_e32 v8, v6, v10
	v_sub_f32_e32 v70, v107, v57
	;; [unrolled: 1-line block ×3, first 2 shown]
	v_dual_sub_f32 v9, v56, v13 :: v_dual_sub_f32 v72, v103, v58
	v_sub_f32_e32 v10, v7, v14
	v_sub_f32_e32 v13, v59, v61
	;; [unrolled: 1-line block ×3, first 2 shown]
	v_dual_sub_f32 v14, v11, v73 :: v_dual_sub_f32 v57, v60, v62
	v_fma_f32 v71, v98, 2.0, -v63
	v_fma_f32 v73, v99, 2.0, -v64
	;; [unrolled: 1-line block ×12, first 2 shown]
	v_add_f32_e32 v0, v63, v0
	v_sub_f32_e32 v1, v64, v4
	v_dual_add_f32 v2, v65, v8 :: v_dual_sub_f32 v3, v66, v3
	v_sub_f32_e32 v5, v70, v5
	v_fma_f32 v83, v103, 2.0, -v72
	v_fma_f32 v84, v7, 2.0, -v10
	;; [unrolled: 1-line block ×3, first 2 shown]
	v_dual_add_f32 v6, v69, v13 :: v_dual_sub_f32 v7, v72, v10
	v_fma_f32 v86, v110, 2.0, -v80
	v_fma_f32 v87, v111, 2.0, -v81
	;; [unrolled: 1-line block ×4, first 2 shown]
	v_dual_sub_f32 v10, v71, v58 :: v_dual_sub_f32 v11, v73, v61
	v_add_f32_e32 v4, v67, v9
	v_add_f32_e32 v8, v80, v57
	v_dual_sub_f32 v56, v74, v62 :: v_dual_sub_f32 v57, v75, v76
	v_dual_sub_f32 v60, v77, v68 :: v_dual_sub_f32 v61, v78, v79
	v_sub_f32_e32 v9, v81, v14
	v_fma_f32 v13, v63, 2.0, -v0
	v_fma_f32 v14, v64, 2.0, -v1
	;; [unrolled: 1-line block ×5, first 2 shown]
	v_dual_sub_f32 v64, v82, v84 :: v_dual_sub_f32 v65, v83, v85
	v_fma_f32 v66, v69, 2.0, -v6
	v_dual_sub_f32 v68, v86, v88 :: v_dual_sub_f32 v69, v87, v89
	v_fma_f32 v70, v71, 2.0, -v10
	v_fma_f32 v71, v73, 2.0, -v11
	;; [unrolled: 1-line block ×14, first 2 shown]
	ds_store_2addr_b64 v45, v[70:71], v[13:14] offset1:40
	ds_store_2addr_b64 v45, v[10:11], v[0:1] offset0:80 offset1:120
	ds_store_2addr_b64 v55, v[72:73], v[58:59] offset1:40
	ds_store_2addr_b64 v55, v[56:57], v[2:3] offset0:80 offset1:120
	;; [unrolled: 2-line block ×3, first 2 shown]
	ds_store_2addr_b64 v45, v[76:77], v[78:79] offset0:168 offset1:184
	ds_store_2addr_b64 v45, v[66:67], v[80:81] offset0:208 offset1:224
	ds_store_2addr_b64 v12, v[64:65], v[68:69] offset0:120 offset1:136
	ds_store_2addr_b64 v46, v[6:7], v[8:9] offset0:32 offset1:48
	v_lshlrev_b64 v[0:1], 3, v[18:19]
	v_lshlrev_b64 v[2:3], 3, v[22:23]
	v_lshlrev_b64 v[23:24], 3, v[24:25]
	s_waitcnt lgkmcnt(0)
	s_barrier
	buffer_gl0_inv
	v_add_co_u32 v40, s0, s8, v0
	s_delay_alu instid0(VALU_DEP_1) | instskip(SKIP_2) | instid1(VALU_DEP_1)
	v_add_co_ci_u32_e64 v41, s0, s9, v1, s0
	v_lshlrev_b64 v[0:1], 3, v[38:39]
	v_add_co_u32 v38, s0, s8, v2
	v_add_co_ci_u32_e64 v39, s0, s9, v3, s0
	v_lshlrev_b64 v[2:3], 3, v[36:37]
	s_delay_alu instid0(VALU_DEP_4) | instskip(NEXT) | instid1(VALU_DEP_1)
	v_add_co_u32 v14, s0, s8, v0
	v_add_co_ci_u32_e64 v15, s0, s9, v1, s0
	v_lshlrev_b64 v[0:1], 3, v[34:35]
	s_delay_alu instid0(VALU_DEP_4) | instskip(NEXT) | instid1(VALU_DEP_1)
	;; [unrolled: 4-line block ×6, first 2 shown]
	v_add_co_u32 v4, s0, s8, v2
	v_add_co_ci_u32_e64 v5, s0, s9, v3, s0
	s_clause 0x3
	global_load_b64 v[35:36], v[40:41], off offset:1200
	global_load_b64 v[64:65], v[38:39], off offset:1200
	;; [unrolled: 1-line block ×4, first 2 shown]
	v_add_co_u32 v2, s0, s8, v0
	s_delay_alu instid0(VALU_DEP_1) | instskip(SKIP_1) | instid1(VALU_DEP_1)
	v_add_co_ci_u32_e64 v3, s0, s9, v1, s0
	v_add_co_u32 v0, s0, s8, v23
	v_add_co_ci_u32_e64 v1, s0, s9, v24, s0
	s_clause 0x5
	global_load_b64 v[70:71], v[12:13], off offset:1200
	global_load_b64 v[72:73], v[8:9], off offset:1200
	;; [unrolled: 1-line block ×6, first 2 shown]
	ds_load_2addr_b64 v[23:26], v45 offset0:160 offset1:176
	ds_load_2addr_b64 v[27:30], v45 offset0:192 offset1:208
	ds_load_b64 v[82:83], v43
	ds_load_2addr_b64 v[31:34], v45 offset0:224 offset1:240
	ds_load_2addr_b64 v[56:59], v46 offset1:16
	ds_load_b64 v[84:85], v53
	ds_load_b64 v[86:87], v47
	;; [unrolled: 1-line block ×4, first 2 shown]
	ds_load_2addr_b64 v[60:63], v46 offset0:32 offset1:48
	ds_load_b64 v[92:93], v54
	ds_load_b64 v[94:95], v49
	;; [unrolled: 1-line block ×5, first 2 shown]
	s_waitcnt vmcnt(0) lgkmcnt(0)
	s_barrier
	buffer_gl0_inv
	v_cmp_ne_u32_e64 s0, 0, v18
	v_mul_f32_e32 v19, v36, v24
	v_dual_mul_f32 v36, v36, v23 :: v_dual_mul_f32 v37, v65, v26
	v_dual_mul_f32 v46, v65, v25 :: v_dual_mul_f32 v65, v67, v28
	;; [unrolled: 1-line block ×3, first 2 shown]
	v_mul_f32_e32 v69, v69, v29
	v_fmac_f32_e32 v19, v35, v23
	v_fma_f32 v24, v35, v24, -v36
	v_mul_f32_e32 v103, v32, v71
	v_dual_mul_f32 v71, v31, v71 :: v_dual_mul_f32 v104, v34, v73
	v_mul_f32_e32 v73, v33, v73
	v_mul_f32_e32 v105, v57, v75
	v_dual_mul_f32 v75, v56, v75 :: v_dual_mul_f32 v106, v59, v77
	v_mul_f32_e32 v77, v58, v77
	;; [unrolled: 3-line block ×3, first 2 shown]
	v_fmac_f32_e32 v37, v64, v25
	v_fma_f32 v26, v64, v26, -v46
	v_fmac_f32_e32 v65, v66, v27
	v_fma_f32 v28, v66, v28, -v67
	;; [unrolled: 2-line block ×8, first 2 shown]
	v_fmac_f32_e32 v108, v62, v80
	v_sub_f32_e32 v56, v98, v106
	v_fma_f32 v61, v63, v80, -v23
	v_dual_sub_f32 v23, v82, v19 :: v_dual_sub_f32 v24, v83, v24
	v_dual_sub_f32 v25, v88, v37 :: v_dual_sub_f32 v26, v89, v26
	;; [unrolled: 1-line block ×3, first 2 shown]
	v_sub_f32_e32 v29, v96, v102
	v_dual_sub_f32 v30, v97, v30 :: v_dual_sub_f32 v31, v92, v103
	v_sub_f32_e32 v32, v93, v32
	v_dual_sub_f32 v33, v90, v104 :: v_dual_sub_f32 v34, v91, v34
	v_dual_sub_f32 v35, v86, v105 :: v_dual_sub_f32 v36, v87, v36
	;; [unrolled: 1-line block ×4, first 2 shown]
	v_sub_f32_e32 v61, v101, v61
	v_fma_f32 v62, v82, 2.0, -v23
	v_fma_f32 v63, v83, 2.0, -v24
	;; [unrolled: 1-line block ×20, first 2 shown]
	ds_store_2addr_b64 v45, v[62:63], v[23:24] offset1:160
	ds_store_2addr_b64 v55, v[64:65], v[25:26] offset1:160
	;; [unrolled: 1-line block ×10, first 2 shown]
	s_waitcnt lgkmcnt(0)
	s_barrier
	buffer_gl0_inv
	ds_load_b64 v[25:26], v43
	v_sub_nc_u32_e32 v19, v42, v44
                                        ; implicit-def: $vgpr23
                                        ; implicit-def: $vgpr27
                                        ; implicit-def: $vgpr28
	s_and_saveexec_b32 s1, s0
	s_delay_alu instid0(SALU_CYCLE_1)
	s_xor_b32 s0, exec_lo, s1
	s_cbranch_execz .LBB0_15
; %bb.14:
	global_load_b64 v[29:30], v[40:41], off offset:2480
	ds_load_b64 v[23:24], v19 offset:2560
	s_waitcnt lgkmcnt(0)
	v_dual_sub_f32 v27, v25, v23 :: v_dual_add_f32 v28, v24, v26
	v_dual_sub_f32 v24, v26, v24 :: v_dual_add_f32 v23, v23, v25
	s_delay_alu instid0(VALU_DEP_2) | instskip(SKIP_1) | instid1(VALU_DEP_1)
	v_dual_mul_f32 v26, 0.5, v27 :: v_dual_mul_f32 v25, 0.5, v28
	s_waitcnt vmcnt(0)
	v_mul_f32_e32 v28, v30, v26
	s_delay_alu instid0(VALU_DEP_1) | instskip(SKIP_2) | instid1(VALU_DEP_3)
	v_fma_f32 v27, 0.5, v23, v28
	v_mul_f32_e32 v24, 0.5, v24
	v_fma_f32 v23, v23, 0.5, -v28
	v_fmac_f32_e32 v27, v29, v25
	s_delay_alu instid0(VALU_DEP_3) | instskip(SKIP_1) | instid1(VALU_DEP_4)
	v_fma_f32 v31, v25, v30, v24
	v_fma_f32 v24, v25, v30, -v24
	v_fma_f32 v23, -v29, v25, v23
	s_delay_alu instid0(VALU_DEP_3) | instskip(NEXT) | instid1(VALU_DEP_3)
	v_fma_f32 v28, -v29, v26, v31
	v_fma_f32 v24, -v29, v26, v24
                                        ; implicit-def: $vgpr25_vgpr26
.LBB0_15:
	s_and_not1_saveexec_b32 s0, s0
	s_cbranch_execz .LBB0_17
; %bb.16:
	ds_load_b32 v24, v42 offset:1284
	s_waitcnt lgkmcnt(1)
	v_dual_add_f32 v27, v25, v26 :: v_dual_mov_b32 v28, 0
	v_sub_f32_e32 v23, v25, v26
	s_waitcnt lgkmcnt(0)
	v_xor_b32_e32 v25, 0x80000000, v24
	v_mov_b32_e32 v24, 0
	ds_store_b32 v42, v25 offset:1284
.LBB0_17:
	s_or_b32 exec_lo, exec_lo, s0
	s_waitcnt lgkmcnt(0)
	s_clause 0x5
	global_load_b64 v[25:26], v[38:39], off offset:2480
	global_load_b64 v[14:15], v[14:15], off offset:2480
	;; [unrolled: 1-line block ×6, first 2 shown]
	v_lshl_add_u32 v29, v22, 3, v42
	ds_store_2addr_b32 v43, v27, v28 offset1:1
	ds_store_b64 v19, v[23:24] offset:2560
	global_load_b64 v[4:5], v[4:5], off offset:2480
	ds_load_b64 v[22:23], v29
	ds_load_b64 v[27:28], v19 offset:2432
	global_load_b64 v[2:3], v[2:3], off offset:2480
	s_waitcnt lgkmcnt(0)
	v_sub_f32_e32 v24, v22, v27
	v_add_f32_e32 v30, v23, v28
	v_dual_sub_f32 v23, v23, v28 :: v_dual_add_f32 v22, v22, v27
	s_delay_alu instid0(VALU_DEP_1) | instskip(SKIP_1) | instid1(VALU_DEP_1)
	v_dual_mul_f32 v24, 0.5, v24 :: v_dual_mul_f32 v23, 0.5, v23
	s_waitcnt vmcnt(7)
	v_dual_mul_f32 v28, 0.5, v30 :: v_dual_mul_f32 v27, v26, v24
	s_delay_alu instid0(VALU_DEP_1) | instskip(SKIP_1) | instid1(VALU_DEP_3)
	v_fma_f32 v30, v28, v26, v23
	v_fma_f32 v23, v28, v26, -v23
	v_fma_f32 v26, 0.5, v22, v27
	v_fma_f32 v22, v22, 0.5, -v27
	s_delay_alu instid0(VALU_DEP_4) | instskip(NEXT) | instid1(VALU_DEP_4)
	v_fma_f32 v27, -v25, v24, v30
	v_fma_f32 v23, -v25, v24, v23
	s_delay_alu instid0(VALU_DEP_4) | instskip(NEXT) | instid1(VALU_DEP_4)
	v_fmac_f32_e32 v26, v25, v28
	v_fma_f32 v22, -v25, v28, v22
	ds_store_2addr_b32 v29, v26, v27 offset1:1
	ds_store_b64 v19, v[22:23] offset:2432
	ds_load_b64 v[22:23], v53
	ds_load_b64 v[24:25], v19 offset:2304
	global_load_b64 v[0:1], v[0:1], off offset:2480
	s_waitcnt lgkmcnt(0)
	v_dual_sub_f32 v26, v22, v24 :: v_dual_add_f32 v27, v23, v25
	v_dual_sub_f32 v23, v23, v25 :: v_dual_add_f32 v22, v22, v24
	s_delay_alu instid0(VALU_DEP_2) | instskip(SKIP_1) | instid1(VALU_DEP_1)
	v_dual_mul_f32 v25, 0.5, v26 :: v_dual_mul_f32 v26, 0.5, v27
	s_waitcnt vmcnt(7)
	v_dual_mul_f32 v23, 0.5, v23 :: v_dual_mul_f32 v24, v15, v25
	s_delay_alu instid0(VALU_DEP_1) | instskip(SKIP_1) | instid1(VALU_DEP_3)
	v_fma_f32 v27, v26, v15, v23
	v_fma_f32 v15, v26, v15, -v23
	v_fma_f32 v23, 0.5, v22, v24
	s_delay_alu instid0(VALU_DEP_2) | instskip(NEXT) | instid1(VALU_DEP_2)
	v_fma_f32 v15, -v14, v25, v15
	v_fmac_f32_e32 v23, v14, v26
	v_fma_f32 v22, v22, 0.5, -v24
	v_fma_f32 v24, -v14, v25, v27
	s_delay_alu instid0(VALU_DEP_2)
	v_fma_f32 v14, -v14, v26, v22
	ds_store_2addr_b32 v53, v23, v24 offset1:1
	ds_store_b64 v19, v[14:15] offset:2304
	ds_load_b64 v[14:15], v51
	ds_load_b64 v[22:23], v19 offset:2176
	s_waitcnt lgkmcnt(0)
	v_add_f32_e32 v25, v15, v23
	v_dual_sub_f32 v15, v15, v23 :: v_dual_sub_f32 v24, v14, v22
	s_delay_alu instid0(VALU_DEP_1) | instskip(NEXT) | instid1(VALU_DEP_2)
	v_dual_add_f32 v14, v14, v22 :: v_dual_mul_f32 v15, 0.5, v15
	v_dual_mul_f32 v23, 0.5, v24 :: v_dual_mul_f32 v24, 0.5, v25
	s_waitcnt vmcnt(6)
	s_delay_alu instid0(VALU_DEP_1) | instskip(NEXT) | instid1(VALU_DEP_2)
	v_mul_f32_e32 v22, v11, v23
	v_fma_f32 v25, v24, v11, v15
	v_fma_f32 v11, v24, v11, -v15
	s_delay_alu instid0(VALU_DEP_3) | instskip(NEXT) | instid1(VALU_DEP_2)
	v_fma_f32 v15, 0.5, v14, v22
	v_fma_f32 v11, -v10, v23, v11
	s_delay_alu instid0(VALU_DEP_2) | instskip(SKIP_2) | instid1(VALU_DEP_2)
	v_fmac_f32_e32 v15, v10, v24
	v_fma_f32 v14, v14, 0.5, -v22
	v_fma_f32 v22, -v10, v23, v25
	v_fma_f32 v10, -v10, v24, v14
	ds_store_2addr_b32 v51, v15, v22 offset1:1
	ds_store_b64 v19, v[10:11] offset:2176
	ds_load_b64 v[10:11], v54
	ds_load_b64 v[14:15], v19 offset:2048
	s_waitcnt lgkmcnt(0)
	v_dual_sub_f32 v22, v10, v14 :: v_dual_add_f32 v23, v11, v15
	v_dual_sub_f32 v11, v11, v15 :: v_dual_add_f32 v10, v10, v14
	s_delay_alu instid0(VALU_DEP_2) | instskip(NEXT) | instid1(VALU_DEP_2)
	v_dual_mul_f32 v15, 0.5, v22 :: v_dual_mul_f32 v22, 0.5, v23
	v_mul_f32_e32 v11, 0.5, v11
	s_waitcnt vmcnt(5)
	s_delay_alu instid0(VALU_DEP_2) | instskip(NEXT) | instid1(VALU_DEP_2)
	v_mul_f32_e32 v14, v13, v15
	v_fma_f32 v23, v22, v13, v11
	v_fma_f32 v11, v22, v13, -v11
	s_delay_alu instid0(VALU_DEP_3) | instskip(NEXT) | instid1(VALU_DEP_2)
	v_fma_f32 v13, 0.5, v10, v14
	v_fma_f32 v11, -v12, v15, v11
	s_delay_alu instid0(VALU_DEP_2) | instskip(SKIP_2) | instid1(VALU_DEP_2)
	v_fmac_f32_e32 v13, v12, v22
	v_fma_f32 v10, v10, 0.5, -v14
	v_fma_f32 v14, -v12, v15, v23
	v_fma_f32 v10, -v12, v22, v10
	ds_store_2addr_b32 v54, v13, v14 offset1:1
	ds_store_b64 v19, v[10:11] offset:2048
	ds_load_b64 v[10:11], v48
	ds_load_b64 v[12:13], v19 offset:1920
	s_waitcnt lgkmcnt(0)
	v_dual_sub_f32 v14, v10, v12 :: v_dual_add_f32 v15, v11, v13
	v_dual_sub_f32 v11, v11, v13 :: v_dual_add_f32 v10, v10, v12
	s_delay_alu instid0(VALU_DEP_2) | instskip(SKIP_1) | instid1(VALU_DEP_1)
	v_dual_mul_f32 v13, 0.5, v14 :: v_dual_mul_f32 v14, 0.5, v15
	s_waitcnt vmcnt(4)
	v_dual_mul_f32 v11, 0.5, v11 :: v_dual_mul_f32 v12, v9, v13
	s_delay_alu instid0(VALU_DEP_1) | instskip(SKIP_1) | instid1(VALU_DEP_3)
	v_fma_f32 v15, v14, v9, v11
	v_fma_f32 v9, v14, v9, -v11
	v_fma_f32 v11, 0.5, v10, v12
	v_fma_f32 v10, v10, 0.5, -v12
	s_delay_alu instid0(VALU_DEP_4) | instskip(NEXT) | instid1(VALU_DEP_4)
	v_fma_f32 v12, -v8, v13, v15
	v_fma_f32 v9, -v8, v13, v9
	s_delay_alu instid0(VALU_DEP_4) | instskip(NEXT) | instid1(VALU_DEP_4)
	v_fmac_f32_e32 v11, v8, v14
	v_fma_f32 v8, -v8, v14, v10
	ds_store_2addr_b32 v48, v11, v12 offset1:1
	ds_store_b64 v19, v[8:9] offset:1920
	ds_load_b64 v[8:9], v47
	ds_load_b64 v[10:11], v19 offset:1792
	s_waitcnt lgkmcnt(0)
	v_dual_sub_f32 v12, v8, v10 :: v_dual_add_f32 v13, v9, v11
	v_dual_sub_f32 v9, v9, v11 :: v_dual_add_f32 v8, v8, v10
	s_delay_alu instid0(VALU_DEP_2) | instskip(SKIP_1) | instid1(VALU_DEP_1)
	v_dual_mul_f32 v11, 0.5, v12 :: v_dual_mul_f32 v12, 0.5, v13
	s_waitcnt vmcnt(3)
	v_dual_mul_f32 v9, 0.5, v9 :: v_dual_mul_f32 v10, v7, v11
	s_delay_alu instid0(VALU_DEP_1) | instskip(SKIP_1) | instid1(VALU_DEP_3)
	v_fma_f32 v13, v12, v7, v9
	v_fma_f32 v7, v12, v7, -v9
	v_fma_f32 v9, 0.5, v8, v10
	v_fma_f32 v8, v8, 0.5, -v10
	s_delay_alu instid0(VALU_DEP_4) | instskip(NEXT) | instid1(VALU_DEP_4)
	v_fma_f32 v10, -v6, v11, v13
	v_fma_f32 v7, -v6, v11, v7
	s_delay_alu instid0(VALU_DEP_4) | instskip(NEXT) | instid1(VALU_DEP_4)
	v_fmac_f32_e32 v9, v6, v12
	v_fma_f32 v6, -v6, v12, v8
	ds_store_2addr_b32 v47, v9, v10 offset1:1
	ds_store_b64 v19, v[6:7] offset:1792
	ds_load_b64 v[6:7], v50
	ds_load_b64 v[8:9], v19 offset:1664
	s_waitcnt lgkmcnt(0)
	v_dual_sub_f32 v10, v6, v8 :: v_dual_add_f32 v11, v7, v9
	v_dual_sub_f32 v7, v7, v9 :: v_dual_add_f32 v6, v6, v8
	s_delay_alu instid0(VALU_DEP_2) | instskip(SKIP_1) | instid1(VALU_DEP_1)
	v_dual_mul_f32 v9, 0.5, v10 :: v_dual_mul_f32 v10, 0.5, v11
	s_waitcnt vmcnt(2)
	v_dual_mul_f32 v7, 0.5, v7 :: v_dual_mul_f32 v8, v5, v9
	s_delay_alu instid0(VALU_DEP_1) | instskip(SKIP_1) | instid1(VALU_DEP_3)
	v_fma_f32 v11, v10, v5, v7
	v_fma_f32 v5, v10, v5, -v7
	v_fma_f32 v7, 0.5, v6, v8
	v_fma_f32 v6, v6, 0.5, -v8
	s_delay_alu instid0(VALU_DEP_4) | instskip(NEXT) | instid1(VALU_DEP_4)
	v_fma_f32 v8, -v4, v9, v11
	v_fma_f32 v5, -v4, v9, v5
	s_delay_alu instid0(VALU_DEP_4) | instskip(NEXT) | instid1(VALU_DEP_4)
	v_fmac_f32_e32 v7, v4, v10
	v_fma_f32 v4, -v4, v10, v6
	ds_store_2addr_b32 v50, v7, v8 offset1:1
	ds_store_b64 v19, v[4:5] offset:1664
	ds_load_b64 v[4:5], v49
	ds_load_b64 v[6:7], v19 offset:1536
	s_waitcnt lgkmcnt(0)
	v_dual_sub_f32 v8, v4, v6 :: v_dual_add_f32 v9, v5, v7
	v_dual_add_f32 v4, v4, v6 :: v_dual_sub_f32 v5, v5, v7
	s_delay_alu instid0(VALU_DEP_2) | instskip(SKIP_1) | instid1(VALU_DEP_1)
	v_dual_mul_f32 v7, 0.5, v8 :: v_dual_mul_f32 v8, 0.5, v9
	s_waitcnt vmcnt(1)
	v_dual_mul_f32 v5, 0.5, v5 :: v_dual_mul_f32 v6, v3, v7
	s_delay_alu instid0(VALU_DEP_1) | instskip(SKIP_1) | instid1(VALU_DEP_3)
	v_fma_f32 v9, v8, v3, v5
	v_fma_f32 v3, v8, v3, -v5
	v_fma_f32 v5, 0.5, v4, v6
	v_fma_f32 v4, v4, 0.5, -v6
	s_delay_alu instid0(VALU_DEP_4) | instskip(NEXT) | instid1(VALU_DEP_4)
	v_fma_f32 v6, -v2, v7, v9
	v_fma_f32 v3, -v2, v7, v3
	s_delay_alu instid0(VALU_DEP_4) | instskip(NEXT) | instid1(VALU_DEP_4)
	v_fmac_f32_e32 v5, v2, v8
	v_fma_f32 v2, -v2, v8, v4
	ds_store_2addr_b32 v49, v5, v6 offset1:1
	ds_store_b64 v19, v[2:3] offset:1536
	ds_load_b64 v[2:3], v52
	ds_load_b64 v[4:5], v19 offset:1408
	s_waitcnt lgkmcnt(0)
	v_dual_sub_f32 v6, v2, v4 :: v_dual_add_f32 v7, v3, v5
	v_dual_add_f32 v2, v2, v4 :: v_dual_sub_f32 v3, v3, v5
	s_delay_alu instid0(VALU_DEP_2) | instskip(SKIP_1) | instid1(VALU_DEP_1)
	v_dual_mul_f32 v5, 0.5, v6 :: v_dual_mul_f32 v6, 0.5, v7
	s_waitcnt vmcnt(0)
	v_dual_mul_f32 v3, 0.5, v3 :: v_dual_mul_f32 v4, v1, v5
	s_delay_alu instid0(VALU_DEP_1) | instskip(SKIP_1) | instid1(VALU_DEP_3)
	v_fma_f32 v7, v6, v1, v3
	v_fma_f32 v1, v6, v1, -v3
	v_fma_f32 v3, 0.5, v2, v4
	v_fma_f32 v2, v2, 0.5, -v4
	s_delay_alu instid0(VALU_DEP_4) | instskip(NEXT) | instid1(VALU_DEP_4)
	v_fma_f32 v4, -v0, v5, v7
	v_fma_f32 v1, -v0, v5, v1
	s_delay_alu instid0(VALU_DEP_4) | instskip(NEXT) | instid1(VALU_DEP_4)
	v_fmac_f32_e32 v3, v0, v6
	v_fma_f32 v0, -v0, v6, v2
	ds_store_2addr_b32 v52, v3, v4 offset1:1
	ds_store_b64 v19, v[0:1] offset:1408
	s_waitcnt lgkmcnt(0)
	s_barrier
	buffer_gl0_inv
	s_and_saveexec_b32 s0, vcc_lo
	s_cbranch_execz .LBB0_20
; %bb.18:
	v_mul_lo_u32 v3, s3, v20
	v_mul_lo_u32 v4, s2, v21
	v_mad_u64_u32 v[0:1], null, s2, v20, 0
	v_mov_b32_e32 v19, 0
	v_lshlrev_b64 v[11:12], 3, v[16:17]
	v_add_nc_u32_e32 v15, 32, v18
	v_lshl_add_u32 v2, v18, 3, v42
	v_add_nc_u32_e32 v22, 64, v18
	v_mov_b32_e32 v16, v19
	v_add3_u32 v1, v1, v4, v3
	v_lshlrev_b64 v[20:21], 3, v[18:19]
	ds_load_2addr_b64 v[3:6], v2 offset1:16
	ds_load_2addr_b64 v[7:10], v2 offset0:32 offset1:48
	v_lshlrev_b64 v[0:1], 3, v[0:1]
	s_delay_alu instid0(VALU_DEP_1) | instskip(NEXT) | instid1(VALU_DEP_2)
	v_add_co_u32 v0, vcc_lo, s6, v0
	v_add_co_ci_u32_e32 v1, vcc_lo, s7, v1, vcc_lo
	s_delay_alu instid0(VALU_DEP_2) | instskip(NEXT) | instid1(VALU_DEP_2)
	v_add_co_u32 v0, vcc_lo, v0, v11
	v_add_co_ci_u32_e32 v1, vcc_lo, v1, v12, vcc_lo
	v_lshlrev_b64 v[11:12], 3, v[15:16]
	s_delay_alu instid0(VALU_DEP_3)
	v_add_co_u32 v15, vcc_lo, v0, v20
	v_add_nc_u32_e32 v20, 48, v18
	v_dual_mov_b32 v14, v19 :: v_dual_add_nc_u32 v13, 16, v18
	v_add_co_ci_u32_e32 v16, vcc_lo, v1, v21, vcc_lo
	v_mov_b32_e32 v21, v19
	v_mov_b32_e32 v23, v19
	s_delay_alu instid0(VALU_DEP_4) | instskip(SKIP_1) | instid1(VALU_DEP_4)
	v_lshlrev_b64 v[13:14], 3, v[13:14]
	v_add_nc_u32_e32 v17, 0x800, v2
	v_lshlrev_b64 v[20:21], 3, v[20:21]
	s_delay_alu instid0(VALU_DEP_3) | instskip(NEXT) | instid1(VALU_DEP_4)
	v_add_co_u32 v13, vcc_lo, v0, v13
	v_add_co_ci_u32_e32 v14, vcc_lo, v1, v14, vcc_lo
	v_add_co_u32 v11, vcc_lo, v0, v11
	v_add_co_ci_u32_e32 v12, vcc_lo, v1, v12, vcc_lo
	;; [unrolled: 2-line block ×3, first 2 shown]
	s_waitcnt lgkmcnt(1)
	s_clause 0x1
	global_store_b64 v[15:16], v[3:4], off
	global_store_b64 v[13:14], v[5:6], off
	s_waitcnt lgkmcnt(0)
	s_clause 0x1
	global_store_b64 v[11:12], v[7:8], off
	global_store_b64 v[20:21], v[9:10], off
	v_add_nc_u32_e32 v20, 0x70, v18
	v_lshlrev_b64 v[7:8], 3, v[22:23]
	v_dual_mov_b32 v10, v19 :: v_dual_add_nc_u32 v9, 0x50, v18
	ds_load_2addr_b64 v[3:6], v2 offset0:64 offset1:80
	v_dual_mov_b32 v12, v19 :: v_dual_add_nc_u32 v11, 0x60, v18
	v_add_co_u32 v13, vcc_lo, v0, v7
	v_add_co_ci_u32_e32 v14, vcc_lo, v1, v8, vcc_lo
	v_lshlrev_b64 v[15:16], 3, v[9:10]
	ds_load_2addr_b64 v[7:10], v2 offset0:96 offset1:112
	v_dual_mov_b32 v21, v19 :: v_dual_add_nc_u32 v22, 0x80, v18
	v_lshlrev_b64 v[11:12], 3, v[11:12]
	v_add_co_u32 v15, vcc_lo, v0, v15
	s_delay_alu instid0(VALU_DEP_3) | instskip(SKIP_1) | instid1(VALU_DEP_4)
	v_lshlrev_b64 v[20:21], 3, v[20:21]
	v_add_co_ci_u32_e32 v16, vcc_lo, v1, v16, vcc_lo
	v_add_co_u32 v11, vcc_lo, v0, v11
	v_add_co_ci_u32_e32 v12, vcc_lo, v1, v12, vcc_lo
	s_delay_alu instid0(VALU_DEP_4)
	v_add_co_u32 v20, vcc_lo, v0, v20
	v_add_co_ci_u32_e32 v21, vcc_lo, v1, v21, vcc_lo
	s_waitcnt lgkmcnt(1)
	s_clause 0x1
	global_store_b64 v[13:14], v[3:4], off
	global_store_b64 v[15:16], v[5:6], off
	s_waitcnt lgkmcnt(0)
	s_clause 0x1
	global_store_b64 v[11:12], v[7:8], off
	global_store_b64 v[20:21], v[9:10], off
	v_lshlrev_b64 v[7:8], 3, v[22:23]
	v_dual_mov_b32 v10, v19 :: v_dual_add_nc_u32 v9, 0x90, v18
	ds_load_2addr_b64 v[3:6], v2 offset0:128 offset1:144
	v_dual_mov_b32 v12, v19 :: v_dual_add_nc_u32 v11, 0xa0, v18
	v_add_co_u32 v13, vcc_lo, v0, v7
	v_add_co_ci_u32_e32 v14, vcc_lo, v1, v8, vcc_lo
	v_lshlrev_b64 v[15:16], 3, v[9:10]
	ds_load_2addr_b64 v[7:10], v2 offset0:160 offset1:176
	v_dual_mov_b32 v21, v19 :: v_dual_add_nc_u32 v20, 0xb0, v18
	v_lshlrev_b64 v[11:12], 3, v[11:12]
	v_add_nc_u32_e32 v22, 0xc0, v18
	v_add_co_u32 v15, vcc_lo, v0, v15
	s_delay_alu instid0(VALU_DEP_4) | instskip(SKIP_3) | instid1(VALU_DEP_4)
	v_lshlrev_b64 v[20:21], 3, v[20:21]
	v_add_co_ci_u32_e32 v16, vcc_lo, v1, v16, vcc_lo
	v_add_co_u32 v11, vcc_lo, v0, v11
	v_add_co_ci_u32_e32 v12, vcc_lo, v1, v12, vcc_lo
	v_add_co_u32 v20, vcc_lo, v0, v20
	v_add_co_ci_u32_e32 v21, vcc_lo, v1, v21, vcc_lo
	s_waitcnt lgkmcnt(1)
	s_clause 0x1
	global_store_b64 v[13:14], v[3:4], off
	global_store_b64 v[15:16], v[5:6], off
	s_waitcnt lgkmcnt(0)
	s_clause 0x1
	global_store_b64 v[11:12], v[7:8], off
	global_store_b64 v[20:21], v[9:10], off
	v_mov_b32_e32 v21, v19
	v_lshlrev_b64 v[7:8], 3, v[22:23]
	v_dual_mov_b32 v10, v19 :: v_dual_add_nc_u32 v9, 0xd0, v18
	ds_load_2addr_b64 v[3:6], v2 offset0:192 offset1:208
	v_dual_mov_b32 v12, v19 :: v_dual_add_nc_u32 v11, 0xe0, v18
	v_add_co_u32 v13, vcc_lo, v0, v7
	v_add_co_ci_u32_e32 v14, vcc_lo, v1, v8, vcc_lo
	v_lshlrev_b64 v[15:16], 3, v[9:10]
	ds_load_2addr_b64 v[7:10], v2 offset0:224 offset1:240
	v_add_nc_u32_e32 v20, 0xf0, v18
	v_lshlrev_b64 v[11:12], 3, v[11:12]
	v_add_nc_u32_e32 v22, 0x100, v18
	v_add_co_u32 v15, vcc_lo, v0, v15
	s_delay_alu instid0(VALU_DEP_4) | instskip(SKIP_3) | instid1(VALU_DEP_4)
	v_lshlrev_b64 v[20:21], 3, v[20:21]
	v_add_co_ci_u32_e32 v16, vcc_lo, v1, v16, vcc_lo
	v_add_co_u32 v11, vcc_lo, v0, v11
	v_add_co_ci_u32_e32 v12, vcc_lo, v1, v12, vcc_lo
	v_add_co_u32 v20, vcc_lo, v0, v20
	v_add_co_ci_u32_e32 v21, vcc_lo, v1, v21, vcc_lo
	s_waitcnt lgkmcnt(1)
	s_clause 0x1
	global_store_b64 v[13:14], v[3:4], off
	global_store_b64 v[15:16], v[5:6], off
	s_waitcnt lgkmcnt(0)
	s_clause 0x1
	global_store_b64 v[11:12], v[7:8], off
	global_store_b64 v[20:21], v[9:10], off
	v_mov_b32_e32 v21, v19
	v_lshlrev_b64 v[7:8], 3, v[22:23]
	v_dual_mov_b32 v12, v19 :: v_dual_add_nc_u32 v9, 0x110, v18
	v_dual_mov_b32 v10, v19 :: v_dual_add_nc_u32 v11, 0x120, v18
	ds_load_2addr_b64 v[3:6], v17 offset1:16
	v_add_co_u32 v13, vcc_lo, v0, v7
	v_lshlrev_b64 v[15:16], 3, v[9:10]
	v_add_nc_u32_e32 v20, 0x130, v18
	v_add_co_ci_u32_e32 v14, vcc_lo, v1, v8, vcc_lo
	ds_load_2addr_b64 v[7:10], v17 offset0:32 offset1:48
	v_lshlrev_b64 v[11:12], 3, v[11:12]
	v_add_co_u32 v15, vcc_lo, v0, v15
	v_lshlrev_b64 v[19:20], 3, v[20:21]
	v_add_co_ci_u32_e32 v16, vcc_lo, v1, v16, vcc_lo
	s_delay_alu instid0(VALU_DEP_4) | instskip(SKIP_1) | instid1(VALU_DEP_4)
	v_add_co_u32 v11, vcc_lo, v0, v11
	v_add_co_ci_u32_e32 v12, vcc_lo, v1, v12, vcc_lo
	v_add_co_u32 v19, vcc_lo, v0, v19
	v_add_co_ci_u32_e32 v20, vcc_lo, v1, v20, vcc_lo
	v_cmp_eq_u32_e32 vcc_lo, 15, v18
	s_waitcnt lgkmcnt(1)
	s_clause 0x1
	global_store_b64 v[13:14], v[3:4], off
	global_store_b64 v[15:16], v[5:6], off
	s_waitcnt lgkmcnt(0)
	s_clause 0x1
	global_store_b64 v[11:12], v[7:8], off
	global_store_b64 v[19:20], v[9:10], off
	s_and_b32 exec_lo, exec_lo, vcc_lo
	s_cbranch_execz .LBB0_20
; %bb.19:
	ds_load_b64 v[2:3], v2 offset:2440
	s_waitcnt lgkmcnt(0)
	global_store_b64 v[0:1], v[2:3], off offset:2560
.LBB0_20:
	s_nop 0
	s_sendmsg sendmsg(MSG_DEALLOC_VGPRS)
	s_endpgm
	.section	.rodata,"a",@progbits
	.p2align	6, 0x0
	.amdhsa_kernel fft_rtc_back_len320_factors_10_4_4_2_wgs_64_tpt_16_halfLds_sp_op_CI_CI_unitstride_sbrr_R2C_dirReg
		.amdhsa_group_segment_fixed_size 0
		.amdhsa_private_segment_fixed_size 0
		.amdhsa_kernarg_size 104
		.amdhsa_user_sgpr_count 15
		.amdhsa_user_sgpr_dispatch_ptr 0
		.amdhsa_user_sgpr_queue_ptr 0
		.amdhsa_user_sgpr_kernarg_segment_ptr 1
		.amdhsa_user_sgpr_dispatch_id 0
		.amdhsa_user_sgpr_private_segment_size 0
		.amdhsa_wavefront_size32 1
		.amdhsa_uses_dynamic_stack 0
		.amdhsa_enable_private_segment 0
		.amdhsa_system_sgpr_workgroup_id_x 1
		.amdhsa_system_sgpr_workgroup_id_y 0
		.amdhsa_system_sgpr_workgroup_id_z 0
		.amdhsa_system_sgpr_workgroup_info 0
		.amdhsa_system_vgpr_workitem_id 0
		.amdhsa_next_free_vgpr 117
		.amdhsa_next_free_sgpr 27
		.amdhsa_reserve_vcc 1
		.amdhsa_float_round_mode_32 0
		.amdhsa_float_round_mode_16_64 0
		.amdhsa_float_denorm_mode_32 3
		.amdhsa_float_denorm_mode_16_64 3
		.amdhsa_dx10_clamp 1
		.amdhsa_ieee_mode 1
		.amdhsa_fp16_overflow 0
		.amdhsa_workgroup_processor_mode 1
		.amdhsa_memory_ordered 1
		.amdhsa_forward_progress 0
		.amdhsa_shared_vgpr_count 0
		.amdhsa_exception_fp_ieee_invalid_op 0
		.amdhsa_exception_fp_denorm_src 0
		.amdhsa_exception_fp_ieee_div_zero 0
		.amdhsa_exception_fp_ieee_overflow 0
		.amdhsa_exception_fp_ieee_underflow 0
		.amdhsa_exception_fp_ieee_inexact 0
		.amdhsa_exception_int_div_zero 0
	.end_amdhsa_kernel
	.text
.Lfunc_end0:
	.size	fft_rtc_back_len320_factors_10_4_4_2_wgs_64_tpt_16_halfLds_sp_op_CI_CI_unitstride_sbrr_R2C_dirReg, .Lfunc_end0-fft_rtc_back_len320_factors_10_4_4_2_wgs_64_tpt_16_halfLds_sp_op_CI_CI_unitstride_sbrr_R2C_dirReg
                                        ; -- End function
	.section	.AMDGPU.csdata,"",@progbits
; Kernel info:
; codeLenInByte = 10972
; NumSgprs: 29
; NumVgprs: 117
; ScratchSize: 0
; MemoryBound: 0
; FloatMode: 240
; IeeeMode: 1
; LDSByteSize: 0 bytes/workgroup (compile time only)
; SGPRBlocks: 3
; VGPRBlocks: 14
; NumSGPRsForWavesPerEU: 29
; NumVGPRsForWavesPerEU: 117
; Occupancy: 12
; WaveLimiterHint : 1
; COMPUTE_PGM_RSRC2:SCRATCH_EN: 0
; COMPUTE_PGM_RSRC2:USER_SGPR: 15
; COMPUTE_PGM_RSRC2:TRAP_HANDLER: 0
; COMPUTE_PGM_RSRC2:TGID_X_EN: 1
; COMPUTE_PGM_RSRC2:TGID_Y_EN: 0
; COMPUTE_PGM_RSRC2:TGID_Z_EN: 0
; COMPUTE_PGM_RSRC2:TIDIG_COMP_CNT: 0
	.text
	.p2alignl 7, 3214868480
	.fill 96, 4, 3214868480
	.type	__hip_cuid_c3f5898928a69896,@object ; @__hip_cuid_c3f5898928a69896
	.section	.bss,"aw",@nobits
	.globl	__hip_cuid_c3f5898928a69896
__hip_cuid_c3f5898928a69896:
	.byte	0                               ; 0x0
	.size	__hip_cuid_c3f5898928a69896, 1

	.ident	"AMD clang version 19.0.0git (https://github.com/RadeonOpenCompute/llvm-project roc-6.4.0 25133 c7fe45cf4b819c5991fe208aaa96edf142730f1d)"
	.section	".note.GNU-stack","",@progbits
	.addrsig
	.addrsig_sym __hip_cuid_c3f5898928a69896
	.amdgpu_metadata
---
amdhsa.kernels:
  - .args:
      - .actual_access:  read_only
        .address_space:  global
        .offset:         0
        .size:           8
        .value_kind:     global_buffer
      - .offset:         8
        .size:           8
        .value_kind:     by_value
      - .actual_access:  read_only
        .address_space:  global
        .offset:         16
        .size:           8
        .value_kind:     global_buffer
      - .actual_access:  read_only
        .address_space:  global
        .offset:         24
        .size:           8
        .value_kind:     global_buffer
      - .actual_access:  read_only
        .address_space:  global
        .offset:         32
        .size:           8
        .value_kind:     global_buffer
      - .offset:         40
        .size:           8
        .value_kind:     by_value
      - .actual_access:  read_only
        .address_space:  global
        .offset:         48
        .size:           8
        .value_kind:     global_buffer
      - .actual_access:  read_only
        .address_space:  global
        .offset:         56
        .size:           8
        .value_kind:     global_buffer
      - .offset:         64
        .size:           4
        .value_kind:     by_value
      - .actual_access:  read_only
        .address_space:  global
        .offset:         72
        .size:           8
        .value_kind:     global_buffer
      - .actual_access:  read_only
        .address_space:  global
        .offset:         80
        .size:           8
        .value_kind:     global_buffer
      - .actual_access:  read_only
        .address_space:  global
        .offset:         88
        .size:           8
        .value_kind:     global_buffer
      - .actual_access:  write_only
        .address_space:  global
        .offset:         96
        .size:           8
        .value_kind:     global_buffer
    .group_segment_fixed_size: 0
    .kernarg_segment_align: 8
    .kernarg_segment_size: 104
    .language:       OpenCL C
    .language_version:
      - 2
      - 0
    .max_flat_workgroup_size: 64
    .name:           fft_rtc_back_len320_factors_10_4_4_2_wgs_64_tpt_16_halfLds_sp_op_CI_CI_unitstride_sbrr_R2C_dirReg
    .private_segment_fixed_size: 0
    .sgpr_count:     29
    .sgpr_spill_count: 0
    .symbol:         fft_rtc_back_len320_factors_10_4_4_2_wgs_64_tpt_16_halfLds_sp_op_CI_CI_unitstride_sbrr_R2C_dirReg.kd
    .uniform_work_group_size: 1
    .uses_dynamic_stack: false
    .vgpr_count:     117
    .vgpr_spill_count: 0
    .wavefront_size: 32
    .workgroup_processor_mode: 1
amdhsa.target:   amdgcn-amd-amdhsa--gfx1100
amdhsa.version:
  - 1
  - 2
...

	.end_amdgpu_metadata
